;; amdgpu-corpus repo=ROCm/rocFFT kind=compiled arch=gfx906 opt=O3
	.text
	.amdgcn_target "amdgcn-amd-amdhsa--gfx906"
	.amdhsa_code_object_version 6
	.protected	bluestein_single_fwd_len495_dim1_sp_op_CI_CI ; -- Begin function bluestein_single_fwd_len495_dim1_sp_op_CI_CI
	.globl	bluestein_single_fwd_len495_dim1_sp_op_CI_CI
	.p2align	8
	.type	bluestein_single_fwd_len495_dim1_sp_op_CI_CI,@function
bluestein_single_fwd_len495_dim1_sp_op_CI_CI: ; @bluestein_single_fwd_len495_dim1_sp_op_CI_CI
; %bb.0:
	s_load_dwordx4 s[0:3], s[4:5], 0x28
	v_mul_u32_u24_e32 v1, 0x4a8, v0
	v_add_u32_sdwa v52, s6, v1 dst_sel:DWORD dst_unused:UNUSED_PAD src0_sel:DWORD src1_sel:WORD_1
	v_mov_b32_e32 v53, 0
	s_waitcnt lgkmcnt(0)
	v_cmp_gt_u64_e32 vcc, s[0:1], v[52:53]
	s_and_saveexec_b64 s[0:1], vcc
	s_cbranch_execz .LBB0_23
; %bb.1:
	s_load_dwordx2 s[8:9], s[4:5], 0x0
	s_load_dwordx2 s[10:11], s[4:5], 0x38
	v_mov_b32_e32 v2, 55
	v_mul_lo_u16_sdwa v1, v1, v2 dst_sel:DWORD dst_unused:UNUSED_PAD src0_sel:WORD_1 src1_sel:DWORD
	v_sub_u16_e32 v58, v0, v1
	v_cmp_gt_u16_e32 vcc, 45, v58
	v_lshlrev_b32_e32 v57, 3, v58
	s_and_saveexec_b64 s[6:7], vcc
	s_cbranch_execz .LBB0_3
; %bb.2:
	s_load_dwordx2 s[0:1], s[4:5], 0x18
	s_waitcnt lgkmcnt(0)
	s_load_dwordx4 s[12:15], s[0:1], 0x0
	s_waitcnt lgkmcnt(0)
	v_mad_u64_u32 v[0:1], s[0:1], s14, v52, 0
	v_mad_u64_u32 v[2:3], s[0:1], s12, v58, 0
	;; [unrolled: 1-line block ×4, first 2 shown]
	v_mov_b32_e32 v1, v4
	v_lshlrev_b64 v[0:1], 3, v[0:1]
	v_mov_b32_e32 v3, v5
	v_mov_b32_e32 v6, s3
	v_lshlrev_b64 v[2:3], 3, v[2:3]
	v_add_co_u32_e64 v0, s[0:1], s2, v0
	v_addc_co_u32_e64 v1, s[0:1], v6, v1, s[0:1]
	v_add_co_u32_e64 v0, s[0:1], v0, v2
	v_addc_co_u32_e64 v1, s[0:1], v1, v3, s[0:1]
	s_mul_i32 s0, s13, 0x168
	s_mul_hi_u32 s1, s12, 0x168
	s_add_i32 s2, s1, s0
	s_mul_i32 s3, s12, 0x168
	v_mov_b32_e32 v3, s2
	v_add_co_u32_e64 v2, s[0:1], s3, v0
	v_addc_co_u32_e64 v3, s[0:1], v1, v3, s[0:1]
	v_mov_b32_e32 v5, s2
	v_add_co_u32_e64 v4, s[0:1], s3, v2
	v_addc_co_u32_e64 v5, s[0:1], v3, v5, s[0:1]
	;; [unrolled: 3-line block ×3, first 2 shown]
	global_load_dwordx2 v[8:9], v[0:1], off
	global_load_dwordx2 v[10:11], v[2:3], off
	;; [unrolled: 1-line block ×4, first 2 shown]
	global_load_dwordx2 v[16:17], v57, s[8:9]
	global_load_dwordx2 v[18:19], v57, s[8:9] offset:360
	global_load_dwordx2 v[20:21], v57, s[8:9] offset:720
	;; [unrolled: 1-line block ×3, first 2 shown]
	v_mov_b32_e32 v1, s2
	v_add_co_u32_e64 v0, s[0:1], s3, v6
	v_addc_co_u32_e64 v1, s[0:1], v7, v1, s[0:1]
	global_load_dwordx2 v[2:3], v[0:1], off
	global_load_dwordx2 v[4:5], v57, s[8:9] offset:1440
	v_mov_b32_e32 v6, s2
	v_add_co_u32_e64 v0, s[0:1], s3, v0
	v_addc_co_u32_e64 v1, s[0:1], v1, v6, s[0:1]
	global_load_dwordx2 v[6:7], v[0:1], off
	v_mov_b32_e32 v24, s2
	v_add_co_u32_e64 v0, s[0:1], s3, v0
	v_addc_co_u32_e64 v1, s[0:1], v1, v24, s[0:1]
	global_load_dwordx2 v[24:25], v[0:1], off
	v_mov_b32_e32 v26, s2
	v_add_co_u32_e64 v0, s[0:1], s3, v0
	v_addc_co_u32_e64 v1, s[0:1], v1, v26, s[0:1]
	global_load_dwordx2 v[26:27], v57, s[8:9] offset:1800
	global_load_dwordx2 v[28:29], v[0:1], off
	global_load_dwordx2 v[30:31], v57, s[8:9] offset:2160
	global_load_dwordx2 v[32:33], v57, s[8:9] offset:2520
	v_mov_b32_e32 v34, s2
	v_add_co_u32_e64 v0, s[0:1], s3, v0
	v_addc_co_u32_e64 v1, s[0:1], v1, v34, s[0:1]
	global_load_dwordx2 v[34:35], v[0:1], off
	v_mov_b32_e32 v36, s2
	v_add_co_u32_e64 v0, s[0:1], s3, v0
	v_addc_co_u32_e64 v1, s[0:1], v1, v36, s[0:1]
	global_load_dwordx2 v[36:37], v57, s[8:9] offset:2880
	global_load_dwordx2 v[38:39], v[0:1], off
	global_load_dwordx2 v[40:41], v57, s[8:9] offset:3240
	v_mov_b32_e32 v42, s2
	v_add_co_u32_e64 v0, s[0:1], s3, v0
	v_addc_co_u32_e64 v1, s[0:1], v1, v42, s[0:1]
	global_load_dwordx2 v[42:43], v57, s[8:9] offset:3600
	global_load_dwordx2 v[44:45], v[0:1], off
	s_waitcnt vmcnt(17)
	v_mul_f32_e32 v0, v9, v17
	v_mul_f32_e32 v1, v8, v17
	v_fmac_f32_e32 v0, v8, v16
	v_fma_f32 v1, v9, v16, -v1
	s_waitcnt vmcnt(16)
	v_mul_f32_e32 v8, v11, v19
	v_mul_f32_e32 v9, v10, v19
	v_fmac_f32_e32 v8, v10, v18
	v_fma_f32 v9, v11, v18, -v9
	ds_write2_b64 v57, v[0:1], v[8:9] offset1:45
	s_waitcnt vmcnt(15)
	v_mul_f32_e32 v0, v13, v21
	v_mul_f32_e32 v1, v12, v21
	s_waitcnt vmcnt(14)
	v_mul_f32_e32 v8, v15, v23
	v_mul_f32_e32 v9, v14, v23
	v_fmac_f32_e32 v0, v12, v20
	v_fma_f32 v1, v13, v20, -v1
	v_fmac_f32_e32 v8, v14, v22
	v_fma_f32 v9, v15, v22, -v9
	ds_write2_b64 v57, v[0:1], v[8:9] offset0:90 offset1:135
	s_waitcnt vmcnt(12)
	v_mul_f32_e32 v0, v3, v5
	v_mul_f32_e32 v1, v2, v5
	v_fmac_f32_e32 v0, v2, v4
	v_fma_f32 v1, v3, v4, -v1
	v_add_u32_e32 v4, 0x800, v57
	s_waitcnt vmcnt(9)
	v_mul_f32_e32 v2, v7, v27
	v_mul_f32_e32 v3, v6, v27
	v_fmac_f32_e32 v2, v6, v26
	v_fma_f32 v3, v7, v26, -v3
	ds_write2_b64 v57, v[0:1], v[2:3] offset0:180 offset1:225
	s_waitcnt vmcnt(7)
	v_mul_f32_e32 v0, v25, v31
	v_mul_f32_e32 v1, v24, v31
	s_waitcnt vmcnt(6)
	v_mul_f32_e32 v2, v29, v33
	v_mul_f32_e32 v3, v28, v33
	v_fmac_f32_e32 v0, v24, v30
	v_fma_f32 v1, v25, v30, -v1
	v_fmac_f32_e32 v2, v28, v32
	v_fma_f32 v3, v29, v32, -v3
	ds_write2_b64 v4, v[0:1], v[2:3] offset0:14 offset1:59
	s_waitcnt vmcnt(4)
	v_mul_f32_e32 v0, v35, v37
	v_mul_f32_e32 v1, v34, v37
	s_waitcnt vmcnt(2)
	v_mul_f32_e32 v2, v39, v41
	v_mul_f32_e32 v3, v38, v41
	v_fmac_f32_e32 v0, v34, v36
	v_fma_f32 v1, v35, v36, -v1
	v_fmac_f32_e32 v2, v38, v40
	v_fma_f32 v3, v39, v40, -v3
	ds_write2_b64 v4, v[0:1], v[2:3] offset0:104 offset1:149
	s_waitcnt vmcnt(0)
	v_mul_f32_e32 v0, v45, v43
	v_mul_f32_e32 v1, v44, v43
	v_fmac_f32_e32 v0, v44, v42
	v_fma_f32 v1, v45, v42, -v1
	ds_write_b64 v57, v[0:1] offset:3600
.LBB0_3:
	s_or_b64 exec, exec, s[6:7]
	s_load_dwordx2 s[0:1], s[4:5], 0x20
	s_load_dwordx2 s[12:13], s[4:5], 0x8
	v_mov_b32_e32 v0, 0
	v_mov_b32_e32 v1, 0
	s_waitcnt lgkmcnt(0)
	; wave barrier
	s_waitcnt lgkmcnt(0)
                                        ; implicit-def: $vgpr4
                                        ; implicit-def: $vgpr16
                                        ; implicit-def: $vgpr20
                                        ; implicit-def: $vgpr14
                                        ; implicit-def: $vgpr10
	s_and_saveexec_b64 s[2:3], vcc
	s_cbranch_execz .LBB0_5
; %bb.4:
	v_add_u32_e32 v16, 0x800, v57
	ds_read2_b64 v[0:3], v57 offset1:45
	ds_read2_b64 v[8:11], v57 offset0:90 offset1:135
	ds_read2_b64 v[12:15], v57 offset0:180 offset1:225
	;; [unrolled: 1-line block ×4, first 2 shown]
	ds_read_b64 v[20:21], v57 offset:3600
.LBB0_5:
	s_or_b64 exec, exec, s[2:3]
	s_waitcnt lgkmcnt(0)
	v_sub_f32_e32 v43, v3, v21
	v_mul_f32_e32 v32, 0xbf0a6770, v43
	v_add_f32_e32 v22, v20, v2
	v_sub_f32_e32 v46, v2, v20
	v_mov_b32_e32 v24, v32
	v_add_f32_e32 v23, v21, v3
	s_mov_b32 s4, 0x3f575c64
	v_mul_f32_e32 v34, 0xbf0a6770, v46
	v_fmac_f32_e32 v24, 0x3f575c64, v22
	v_add_f32_e32 v26, v24, v0
	v_fma_f32 v24, v23, s4, -v34
	v_mul_f32_e32 v37, 0xbf68dda4, v43
	v_add_f32_e32 v27, v24, v1
	v_mov_b32_e32 v24, v37
	v_sub_f32_e32 v45, v9, v19
	v_fmac_f32_e32 v24, 0x3ed4b147, v22
	v_mul_f32_e32 v33, 0xbf68dda4, v45
	v_add_f32_e32 v49, v24, v0
	v_add_f32_e32 v24, v18, v8
	v_sub_f32_e32 v48, v8, v18
	v_mov_b32_e32 v28, v33
	s_mov_b32 s5, 0x3ed4b147
	v_add_f32_e32 v25, v19, v9
	v_mul_f32_e32 v36, 0xbf68dda4, v48
	v_fmac_f32_e32 v28, 0x3ed4b147, v24
	v_sub_f32_e32 v47, v11, v17
	v_add_f32_e32 v28, v28, v26
	v_fma_f32 v26, v25, s5, -v36
	v_mul_f32_e32 v35, 0xbf7d64f0, v47
	v_add_f32_e32 v29, v26, v27
	v_add_f32_e32 v26, v16, v10
	v_sub_f32_e32 v55, v10, v16
	v_mov_b32_e32 v30, v35
	v_add_f32_e32 v27, v17, v11
	s_mov_b32 s7, 0xbe11bafb
	v_mul_f32_e32 v39, 0xbf7d64f0, v55
	v_fmac_f32_e32 v30, 0xbe11bafb, v26
	v_sub_f32_e32 v56, v13, v7
	v_add_f32_e32 v30, v30, v28
	v_fma_f32 v28, v27, s7, -v39
	v_mul_f32_e32 v38, 0xbf4178ce, v56
	v_add_f32_e32 v31, v28, v29
	v_add_f32_e32 v28, v6, v12
	v_sub_f32_e32 v65, v12, v6
	v_mov_b32_e32 v41, v38
	s_mov_b32 s6, 0xbf27a4f4
	v_add_f32_e32 v29, v7, v13
	v_mul_f32_e32 v42, 0xbf4178ce, v65
	v_fmac_f32_e32 v41, 0xbf27a4f4, v28
	v_sub_f32_e32 v63, v15, v5
	v_add_f32_e32 v50, v41, v30
	v_fma_f32 v30, v29, s6, -v42
	v_mul_f32_e32 v41, 0xbe903f40, v63
	v_add_f32_e32 v51, v30, v31
	v_add_f32_e32 v30, v4, v14
	v_sub_f32_e32 v64, v14, v4
	v_mov_b32_e32 v53, v41
	s_mov_b32 s14, 0xbf75a155
	v_add_f32_e32 v31, v5, v15
	v_mul_f32_e32 v44, 0xbe903f40, v64
	v_fmac_f32_e32 v53, 0xbf75a155, v30
	v_add_f32_e32 v53, v53, v50
	v_fma_f32 v50, v31, s14, -v44
	v_add_f32_e32 v54, v50, v51
	v_mul_f32_e32 v51, 0xbf4178ce, v45
	v_mov_b32_e32 v50, v51
	v_mul_f32_e32 v40, 0xbf68dda4, v46
	v_fmac_f32_e32 v50, 0xbf27a4f4, v24
	v_add_f32_e32 v49, v50, v49
	v_fma_f32 v50, v23, s5, -v40
	v_mul_f32_e32 v66, 0xbf4178ce, v48
	v_add_f32_e32 v50, v50, v1
	v_fma_f32 v59, v25, s6, -v66
	v_mul_f32_e32 v60, 0x3e903f40, v47
	v_add_f32_e32 v50, v59, v50
	v_mov_b32_e32 v59, v60
	v_fmac_f32_e32 v59, 0xbf75a155, v26
	v_mul_f32_e32 v67, 0x3e903f40, v55
	v_add_f32_e32 v49, v59, v49
	v_fma_f32 v59, v27, s14, -v67
	v_mul_f32_e32 v61, 0x3f7d64f0, v56
	v_add_f32_e32 v50, v59, v50
	v_mov_b32_e32 v59, v61
	v_fmac_f32_e32 v59, 0xbe11bafb, v28
	;; [unrolled: 7-line block ×3, first 2 shown]
	v_mul_f32_e32 v69, 0x3f0a6770, v64
	v_add_f32_e32 v49, v59, v49
	v_fma_f32 v59, v31, s4, -v69
	v_add_f32_e32 v50, v59, v50
	v_mul_lo_u16_e32 v59, 11, v58
	s_waitcnt lgkmcnt(0)
	; wave barrier
	s_and_saveexec_b64 s[2:3], vcc
	s_cbranch_execz .LBB0_7
; %bb.6:
	v_mul_f32_e32 v74, 0xbe903f40, v46
	v_mov_b32_e32 v70, v74
	v_mul_f32_e32 v75, 0x3f0a6770, v48
	v_fmac_f32_e32 v70, 0xbf75a155, v23
	v_mov_b32_e32 v71, v75
	v_add_f32_e32 v70, v70, v1
	v_fmac_f32_e32 v71, 0x3f575c64, v25
	v_mul_f32_e32 v76, 0xbf4178ce, v55
	v_add_f32_e32 v70, v71, v70
	v_mov_b32_e32 v71, v76
	v_fmac_f32_e32 v71, 0xbf27a4f4, v27
	v_mul_f32_e32 v77, 0x3f68dda4, v65
	v_add_f32_e32 v70, v71, v70
	v_mov_b32_e32 v71, v77
	;; [unrolled: 4-line block ×3, first 2 shown]
	v_fmac_f32_e32 v71, 0xbe11bafb, v31
	v_mul_f32_e32 v79, 0xbe903f40, v43
	v_add_f32_e32 v71, v71, v70
	v_fma_f32 v70, v22, s14, -v79
	v_mul_f32_e32 v80, 0x3f0a6770, v45
	v_add_f32_e32 v70, v70, v0
	v_fma_f32 v72, v24, s4, -v80
	;; [unrolled: 3-line block ×5, first 2 shown]
	v_mul_f32_e32 v84, 0xbf4178ce, v46
	v_add_f32_e32 v70, v72, v70
	v_mov_b32_e32 v72, v84
	v_mul_f32_e32 v85, 0x3f7d64f0, v48
	v_fmac_f32_e32 v72, 0xbf27a4f4, v23
	v_mov_b32_e32 v73, v85
	v_add_f32_e32 v72, v72, v1
	v_fmac_f32_e32 v73, 0xbe11bafb, v25
	v_mul_f32_e32 v86, 0xbf0a6770, v55
	v_add_f32_e32 v72, v73, v72
	v_mov_b32_e32 v73, v86
	v_fmac_f32_e32 v73, 0x3f575c64, v27
	v_mul_f32_e32 v87, 0xbe903f40, v65
	v_add_f32_e32 v72, v73, v72
	v_mov_b32_e32 v73, v87
	v_fmac_f32_e32 v73, 0xbf75a155, v29
	v_mul_f32_e32 v88, 0xbf4178ce, v43
	v_add_f32_e32 v72, v73, v72
	v_fma_f32 v73, v22, s6, -v88
	v_mul_f32_e32 v89, 0x3f7d64f0, v45
	v_add_f32_e32 v73, v73, v0
	v_fma_f32 v90, v24, s7, -v89
	v_add_f32_e32 v73, v90, v73
	v_mul_f32_e32 v90, 0xbf0a6770, v47
	v_fma_f32 v91, v26, s4, -v90
	v_add_f32_e32 v73, v91, v73
	v_mul_f32_e32 v91, 0xbe903f40, v56
	v_fma_f32 v92, v28, s14, -v91
	v_mul_f32_e32 v93, 0x3f68dda4, v64
	v_add_f32_e32 v92, v92, v73
	v_mov_b32_e32 v73, v93
	v_fmac_f32_e32 v73, 0x3ed4b147, v31
	v_mul_f32_e32 v94, 0x3f68dda4, v63
	v_add_f32_e32 v73, v73, v72
	v_fma_f32 v72, v30, s5, -v94
	v_add_f32_e32 v72, v72, v92
	v_mul_f32_e32 v92, 0xbf7d64f0, v46
	v_mov_b32_e32 v46, v92
	v_mul_f32_e32 v95, 0x3e903f40, v48
	v_fmac_f32_e32 v46, 0xbe11bafb, v23
	v_mov_b32_e32 v48, v95
	v_add_f32_e32 v46, v46, v1
	v_fmac_f32_e32 v48, 0xbf75a155, v25
	v_mul_f32_e32 v55, 0x3f68dda4, v55
	v_add_f32_e32 v46, v48, v46
	v_mov_b32_e32 v48, v55
	v_fmac_f32_e32 v48, 0x3ed4b147, v27
	v_mul_f32_e32 v65, 0xbf0a6770, v65
	v_add_f32_e32 v46, v48, v46
	v_mov_b32_e32 v48, v65
	v_fmac_f32_e32 v48, 0x3f575c64, v29
	v_mul_f32_e32 v43, 0xbf7d64f0, v43
	v_add_f32_e32 v46, v48, v46
	v_fma_f32 v48, v22, s7, -v43
	v_mul_f32_e32 v96, 0x3e903f40, v45
	v_add_f32_e32 v48, v48, v0
	v_fma_f32 v45, v24, s14, -v96
	;; [unrolled: 3-line block ×4, first 2 shown]
	v_mul_f32_e32 v64, 0xbf4178ce, v64
	v_add_f32_e32 v45, v47, v45
	v_mov_b32_e32 v47, v64
	v_fmac_f32_e32 v47, 0xbf27a4f4, v31
	v_mul_f32_e32 v63, 0xbf4178ce, v63
	v_add_f32_e32 v46, v47, v46
	v_fma_f32 v47, v30, s6, -v63
	v_add_f32_e32 v45, v47, v45
	v_mul_f32_e32 v47, 0x3ed4b147, v23
	v_mul_f32_e32 v48, 0x3ed4b147, v22
	v_add_f32_e32 v40, v40, v47
	v_mul_f32_e32 v47, 0xbf27a4f4, v25
	v_sub_f32_e32 v37, v48, v37
	v_mul_f32_e32 v48, 0xbf27a4f4, v24
	v_add_f32_e32 v47, v66, v47
	v_add_f32_e32 v40, v40, v1
	v_sub_f32_e32 v48, v48, v51
	v_add_f32_e32 v37, v37, v0
	v_add_f32_e32 v40, v47, v40
	v_mul_f32_e32 v47, 0xbf75a155, v27
	v_add_f32_e32 v37, v48, v37
	v_mul_f32_e32 v48, 0xbf75a155, v26
	v_add_f32_e32 v47, v67, v47
	v_sub_f32_e32 v48, v48, v60
	v_add_f32_e32 v40, v47, v40
	v_mul_f32_e32 v47, 0xbe11bafb, v29
	v_add_f32_e32 v37, v48, v37
	v_mul_f32_e32 v48, 0xbe11bafb, v28
	v_add_f32_e32 v2, v2, v0
	v_add_f32_e32 v47, v68, v47
	v_sub_f32_e32 v48, v48, v61
	v_add_f32_e32 v3, v3, v1
	v_add_f32_e32 v2, v8, v2
	;; [unrolled: 1-line block ×3, first 2 shown]
	v_mul_f32_e32 v47, 0x3f575c64, v31
	v_add_f32_e32 v37, v48, v37
	v_mul_f32_e32 v48, 0x3f575c64, v30
	v_add_f32_e32 v3, v9, v3
	v_add_f32_e32 v2, v10, v2
	;; [unrolled: 1-line block ×3, first 2 shown]
	v_sub_f32_e32 v51, v48, v62
	v_add_f32_e32 v3, v11, v3
	v_add_f32_e32 v2, v12, v2
	;; [unrolled: 1-line block ×4, first 2 shown]
	v_mul_f32_e32 v37, 0x3f575c64, v23
	v_add_f32_e32 v3, v13, v3
	v_add_f32_e32 v2, v14, v2
	;; [unrolled: 1-line block ×3, first 2 shown]
	v_mul_f32_e32 v37, 0x3ed4b147, v25
	v_add_f32_e32 v3, v15, v3
	v_add_f32_e32 v2, v4, v2
	;; [unrolled: 1-line block ×4, first 2 shown]
	v_mul_f32_e32 v37, 0x3f575c64, v22
	v_add_f32_e32 v3, v5, v3
	v_add_f32_e32 v2, v6, v2
	v_fma_f32 v4, v23, s14, -v74
	v_fma_f32 v6, v23, s6, -v84
	v_add_f32_e32 v34, v36, v34
	v_mul_f32_e32 v36, 0xbe11bafb, v27
	v_sub_f32_e32 v32, v37, v32
	v_mul_f32_e32 v37, 0x3ed4b147, v24
	v_add_f32_e32 v3, v7, v3
	v_add_f32_e32 v4, v4, v1
	v_fma_f32 v5, v25, s4, -v75
	v_add_f32_e32 v6, v6, v1
	v_fma_f32 v7, v25, s7, -v85
	v_add_f32_e32 v36, v39, v36
	v_sub_f32_e32 v33, v37, v33
	v_add_f32_e32 v32, v32, v0
	v_add_f32_e32 v4, v5, v4
	v_fma_f32 v5, v27, s6, -v76
	v_add_f32_e32 v6, v7, v6
	v_fma_f32 v7, v27, s4, -v86
	v_add_f32_e32 v34, v36, v34
	v_mul_f32_e32 v36, 0xbf27a4f4, v29
	v_add_f32_e32 v32, v33, v32
	v_mul_f32_e32 v33, 0xbe11bafb, v26
	v_add_f32_e32 v4, v5, v4
	v_fma_f32 v5, v29, s5, -v77
	v_add_f32_e32 v6, v7, v6
	v_fma_f32 v7, v29, s14, -v87
	v_fma_f32 v8, v23, s7, -v92
	v_add_f32_e32 v36, v42, v36
	v_sub_f32_e32 v33, v33, v35
	v_add_f32_e32 v4, v5, v4
	v_fma_f32 v5, v31, s7, -v78
	v_fmac_f32_e32 v79, 0xbf75a155, v22
	v_add_f32_e32 v6, v7, v6
	v_fma_f32 v7, v31, s5, -v93
	v_fmac_f32_e32 v88, 0xbf27a4f4, v22
	;; [unrolled: 3-line block ×3, first 2 shown]
	v_add_f32_e32 v34, v36, v34
	v_mul_f32_e32 v36, 0xbf75a155, v31
	v_add_f32_e32 v32, v33, v32
	v_mul_f32_e32 v33, 0xbf27a4f4, v28
	v_add_f32_e32 v5, v5, v4
	v_add_f32_e32 v4, v79, v0
	v_fmac_f32_e32 v80, 0x3f575c64, v24
	v_add_f32_e32 v7, v7, v6
	v_add_f32_e32 v6, v88, v0
	v_fmac_f32_e32 v89, 0xbe11bafb, v24
	v_add_f32_e32 v1, v8, v1
	v_fma_f32 v8, v27, s5, -v55
	v_add_f32_e32 v0, v43, v0
	v_fmac_f32_e32 v96, 0xbf75a155, v24
	v_add_f32_e32 v36, v44, v36
	v_sub_f32_e32 v33, v33, v38
	v_mul_f32_e32 v35, 0xbf75a155, v30
	v_add_f32_e32 v3, v17, v3
	v_add_f32_e32 v2, v16, v2
	;; [unrolled: 1-line block ×3, first 2 shown]
	v_fmac_f32_e32 v81, 0xbf27a4f4, v26
	v_add_f32_e32 v6, v89, v6
	v_fmac_f32_e32 v90, 0x3f575c64, v26
	v_add_f32_e32 v1, v8, v1
	v_fma_f32 v8, v29, s4, -v65
	v_add_f32_e32 v0, v96, v0
	v_fmac_f32_e32 v97, 0x3ed4b147, v26
	v_add_f32_e32 v32, v33, v32
	v_add_f32_e32 v33, v36, v34
	v_sub_f32_e32 v34, v35, v41
	v_add_f32_e32 v3, v19, v3
	v_add_f32_e32 v2, v18, v2
	;; [unrolled: 1-line block ×3, first 2 shown]
	v_fmac_f32_e32 v82, 0x3ed4b147, v28
	v_add_f32_e32 v6, v90, v6
	v_fmac_f32_e32 v91, 0xbf75a155, v28
	v_add_f32_e32 v1, v8, v1
	v_fma_f32 v8, v31, s6, -v64
	v_add_f32_e32 v0, v97, v0
	v_fmac_f32_e32 v56, 0x3f575c64, v28
	v_add_f32_e32 v32, v34, v32
	v_add_f32_e32 v3, v21, v3
	v_add_f32_e32 v2, v20, v2
	v_add_f32_e32 v4, v82, v4
	v_fmac_f32_e32 v83, 0xbe11bafb, v30
	v_add_f32_e32 v6, v91, v6
	v_fmac_f32_e32 v94, 0x3ed4b147, v30
	v_add_f32_e32 v1, v8, v1
	v_add_f32_e32 v0, v56, v0
	v_fmac_f32_e32 v63, 0xbf27a4f4, v30
	v_lshlrev_b32_e32 v8, 3, v59
	v_add_f32_e32 v4, v83, v4
	v_add_f32_e32 v6, v94, v6
	;; [unrolled: 1-line block ×3, first 2 shown]
	ds_write2_b64 v8, v[2:3], v[32:33] offset1:1
	ds_write2_b64 v8, v[47:48], v[45:46] offset0:2 offset1:3
	ds_write2_b64 v8, v[72:73], v[70:71] offset0:4 offset1:5
	;; [unrolled: 1-line block ×4, first 2 shown]
	ds_write_b64 v8, v[53:54] offset:80
.LBB0_7:
	s_or_b64 exec, exec, s[2:3]
	s_load_dwordx4 s[4:7], s[0:1], 0x0
	s_movk_i32 s0, 0x75
	v_mul_lo_u16_sdwa v0, v58, s0 dst_sel:DWORD dst_unused:UNUSED_PAD src0_sel:BYTE_0 src1_sel:DWORD
	v_sub_u16_sdwa v1, v58, v0 dst_sel:DWORD dst_unused:UNUSED_PAD src0_sel:DWORD src1_sel:BYTE_1
	v_lshrrev_b16_e32 v1, 1, v1
	v_and_b32_e32 v1, 0x7f, v1
	v_add_u16_sdwa v0, v1, v0 dst_sel:DWORD dst_unused:UNUSED_PAD src0_sel:DWORD src1_sel:BYTE_1
	v_lshrrev_b16_e32 v36, 3, v0
	v_mul_lo_u16_e32 v0, 11, v36
	v_sub_u16_e32 v0, v58, v0
	v_and_b32_e32 v37, 0xff, v0
	v_lshlrev_b32_e32 v12, 6, v37
	s_waitcnt lgkmcnt(0)
	; wave barrier
	s_waitcnt lgkmcnt(0)
	global_load_dwordx4 v[16:19], v12, s[12:13]
	global_load_dwordx4 v[8:11], v12, s[12:13] offset:16
	global_load_dwordx4 v[4:7], v12, s[12:13] offset:32
	;; [unrolled: 1-line block ×3, first 2 shown]
	ds_read2_b64 v[12:15], v57 offset1:55
	ds_read2_b64 v[20:23], v57 offset0:110 offset1:165
	v_add_u32_e32 v61, 0x400, v57
	v_add_u32_e32 v28, 0x800, v57
	ds_read_b64 v[32:33], v57 offset:3520
	ds_read2_b64 v[24:27], v61 offset0:92 offset1:147
	ds_read2_b64 v[28:31], v28 offset0:74 offset1:129
	s_waitcnt lgkmcnt(4)
	v_mov_b32_e32 v34, v12
	v_mov_b32_e32 v35, v13
	s_mov_b32 s0, 0xbf248dbb
	s_waitcnt lgkmcnt(0)
	; wave barrier
	s_waitcnt vmcnt(3) lgkmcnt(0)
	v_mul_f32_e32 v38, v15, v17
	v_mul_f32_e32 v39, v14, v17
	s_waitcnt vmcnt(2)
	v_mul_f32_e32 v43, v22, v9
	s_waitcnt vmcnt(0)
	v_mul_f32_e32 v60, v33, v3
	v_mul_f32_e32 v62, v32, v3
	;; [unrolled: 1-line block ×11, first 2 shown]
	v_fma_f32 v14, v14, v16, -v38
	v_fmac_f32_e32 v39, v15, v16
	v_fmac_f32_e32 v43, v23, v8
	v_fma_f32 v23, v32, v2, -v60
	v_fmac_f32_e32 v62, v33, v2
	v_mul_f32_e32 v44, v25, v11
	v_mul_f32_e32 v47, v28, v7
	v_fma_f32 v15, v20, v18, -v40
	v_fmac_f32_e32 v41, v21, v18
	v_fma_f32 v20, v22, v8, -v42
	v_fmac_f32_e32 v51, v25, v10
	v_fma_f32 v25, v26, v4, -v45
	v_fmac_f32_e32 v55, v27, v4
	v_fma_f32 v21, v28, v6, -v46
	v_fma_f32 v22, v30, v0, -v48
	v_fmac_f32_e32 v56, v31, v0
	v_add_f32_e32 v26, v14, v23
	v_add_f32_e32 v27, v39, v62
	v_sub_f32_e32 v32, v14, v23
	v_sub_f32_e32 v33, v39, v62
	v_fmac_f32_e32 v47, v29, v6
	v_add_f32_e32 v28, v15, v22
	v_add_f32_e32 v29, v41, v56
	;; [unrolled: 1-line block ×3, first 2 shown]
	v_sub_f32_e32 v38, v15, v22
	v_sub_f32_e32 v39, v41, v56
	;; [unrolled: 1-line block ×3, first 2 shown]
	v_mul_f32_e32 v20, 0x3f248dbb, v32
	v_mul_f32_e32 v21, 0x3f248dbb, v33
	v_fmac_f32_e32 v34, 0x3f441b7d, v26
	v_fmac_f32_e32 v35, 0x3f441b7d, v27
	v_fma_f32 v24, v24, v10, -v44
	v_add_f32_e32 v31, v43, v47
	v_sub_f32_e32 v41, v43, v47
	v_fmac_f32_e32 v20, 0x3f7c1c5c, v38
	v_fmac_f32_e32 v21, 0x3f7c1c5c, v39
	;; [unrolled: 1-line block ×4, first 2 shown]
	v_sub_f32_e32 v42, v24, v25
	v_sub_f32_e32 v43, v51, v55
	v_add_f32_e32 v44, v24, v25
	v_add_f32_e32 v56, v51, v55
	v_fmac_f32_e32 v20, 0x3f5db3d7, v40
	v_fmac_f32_e32 v21, 0x3f5db3d7, v41
	v_fmac_f32_e32 v34, -0.5, v30
	v_fmac_f32_e32 v35, -0.5, v31
	v_fmac_f32_e32 v20, 0x3eaf1d44, v42
	v_fmac_f32_e32 v21, 0x3eaf1d44, v43
	;; [unrolled: 1-line block ×4, first 2 shown]
	v_add_f32_e32 v14, v21, v34
	v_sub_f32_e32 v15, v35, v20
	v_fma_f32 v47, -2.0, v21, v14
	v_fma_f32 v48, 2.0, v20, v15
	v_mov_b32_e32 v20, v12
	v_mov_b32_e32 v21, v13
	v_mul_f32_e32 v22, 0xbf248dbb, v42
	v_mul_f32_e32 v23, 0xbf248dbb, v43
	v_fmac_f32_e32 v20, 0x3f441b7d, v44
	v_fmac_f32_e32 v21, 0x3f441b7d, v56
	;; [unrolled: 1-line block ×8, first 2 shown]
	v_fmac_f32_e32 v20, -0.5, v30
	v_fmac_f32_e32 v21, -0.5, v31
	v_fmac_f32_e32 v22, 0x3eaf1d44, v38
	v_fmac_f32_e32 v23, 0x3eaf1d44, v39
	;; [unrolled: 1-line block ×4, first 2 shown]
	v_add_f32_e32 v20, v23, v20
	v_sub_f32_e32 v21, v21, v22
	v_fma_f32 v45, -2.0, v23, v20
	v_fma_f32 v46, 2.0, v22, v21
	v_add_f32_e32 v22, v42, v32
	v_add_f32_e32 v23, v43, v33
	v_mul_f32_e32 v42, 0x3f7c1c5c, v42
	v_mul_f32_e32 v43, 0x3f7c1c5c, v43
	v_sub_f32_e32 v34, v22, v38
	v_sub_f32_e32 v35, v23, v39
	v_fma_f32 v38, v38, s0, -v42
	v_fma_f32 v39, v39, s0, -v43
	v_add_f32_e32 v63, v28, v26
	v_add_f32_e32 v64, v29, v27
	v_fmac_f32_e32 v38, 0x3f5db3d7, v40
	v_fmac_f32_e32 v39, 0x3f5db3d7, v41
	;; [unrolled: 1-line block ×4, first 2 shown]
	v_add_f32_e32 v32, v30, v63
	v_add_f32_e32 v33, v31, v64
	;; [unrolled: 1-line block ×10, first 2 shown]
	v_fmac_f32_e32 v12, 0x3f441b7d, v28
	v_fmac_f32_e32 v13, 0x3f441b7d, v29
	v_add_f32_e32 v66, v56, v64
	v_fmac_f32_e32 v12, 0x3e31d0d4, v44
	v_fmac_f32_e32 v13, 0x3e31d0d4, v56
	v_add_f32_e32 v65, v44, v63
	v_fmac_f32_e32 v23, -0.5, v66
	v_fmac_f32_e32 v12, -0.5, v30
	;; [unrolled: 1-line block ×3, first 2 shown]
	v_mul_f32_e32 v60, 0x3f5db3d7, v34
	v_fmac_f32_e32 v22, -0.5, v65
	v_fmac_f32_e32 v23, 0xbf5db3d7, v34
	v_fmac_f32_e32 v12, 0xbf708fb2, v26
	;; [unrolled: 1-line block ×3, first 2 shown]
	v_mul_u32_u24_e32 v26, 0x63, v36
	v_mul_f32_e32 v62, 0x3f5db3d7, v35
	v_fmac_f32_e32 v22, 0x3f5db3d7, v35
	v_fma_f32 v35, 2.0, v60, v23
	v_add_f32_e32 v12, v39, v12
	v_sub_f32_e32 v13, v13, v38
	v_add_lshl_u32 v60, v26, v37, 3
	v_fma_f32 v34, -2.0, v62, v22
	v_fma_f32 v32, -2.0, v39, v12
	v_fma_f32 v33, 2.0, v38, v13
	ds_write2_b64 v60, v[24:25], v[14:15] offset1:11
	ds_write2_b64 v60, v[20:21], v[22:23] offset0:22 offset1:33
	ds_write2_b64 v60, v[12:13], v[32:33] offset0:44 offset1:55
	;; [unrolled: 1-line block ×3, first 2 shown]
	ds_write_b64 v60, v[47:48] offset:704
	s_waitcnt lgkmcnt(0)
	; wave barrier
	s_waitcnt lgkmcnt(0)
	ds_read2_b64 v[40:43], v57 offset1:99
	ds_read2_b64 v[36:39], v61 offset0:70 offset1:169
	ds_read_b64 v[55:56], v57 offset:3168
	v_cmp_gt_u16_e64 s[0:1], 44, v58
	s_and_saveexec_b64 s[2:3], s[0:1]
	s_cbranch_execz .LBB0_9
; %bb.8:
	ds_read2_b64 v[32:35], v57 offset0:55 offset1:154
	ds_read2_b64 v[45:48], v61 offset0:125 offset1:224
	ds_read_b64 v[49:50], v57 offset:3608
.LBB0_9:
	s_or_b64 exec, exec, s[2:3]
	v_lshlrev_b32_e32 v12, 5, v58
	global_load_dwordx4 v[28:31], v12, s[12:13] offset:704
	global_load_dwordx4 v[24:27], v12, s[12:13] offset:720
	v_add_co_u32_e64 v12, s[2:3], 55, v58
	v_addc_co_u32_e64 v13, s[2:3], 0, 0, s[2:3]
	s_movk_i32 s2, 0xffd4
	v_add_co_u32_e64 v15, s[2:3], s2, v58
	v_addc_co_u32_e64 v20, s[2:3], 0, -1, s[2:3]
	v_cndmask_b32_e64 v13, v20, v13, s[0:1]
	v_cndmask_b32_e64 v12, v15, v12, s[0:1]
	v_lshlrev_b64 v[12:13], 5, v[12:13]
	v_mov_b32_e32 v14, s13
	v_add_co_u32_e64 v62, s[2:3], s12, v12
	v_addc_co_u32_e64 v63, s[2:3], v14, v13, s[2:3]
	global_load_dwordx4 v[20:23], v[62:63], off offset:704
	global_load_dwordx4 v[12:15], v[62:63], off offset:720
	s_waitcnt vmcnt(3) lgkmcnt(2)
	v_mul_f32_e32 v44, v43, v29
	v_mul_f32_e32 v51, v42, v29
	s_waitcnt lgkmcnt(1)
	v_mul_f32_e32 v62, v37, v31
	s_waitcnt vmcnt(2)
	v_mul_f32_e32 v64, v39, v25
	v_mul_f32_e32 v63, v36, v31
	;; [unrolled: 1-line block ×3, first 2 shown]
	s_waitcnt lgkmcnt(0)
	v_mul_f32_e32 v66, v56, v27
	v_fma_f32 v68, v42, v28, -v44
	v_fmac_f32_e32 v51, v43, v28
	v_fma_f32 v43, v36, v30, -v62
	v_fma_f32 v62, v38, v24, -v64
	v_fmac_f32_e32 v63, v37, v30
	v_fmac_f32_e32 v65, v39, v24
	v_fma_f32 v39, v55, v26, -v66
	v_add_f32_e32 v36, v40, v68
	v_add_f32_e32 v37, v43, v62
	;; [unrolled: 1-line block ×3, first 2 shown]
	v_sub_f32_e32 v38, v68, v43
	v_sub_f32_e32 v42, v39, v62
	v_add_f32_e32 v64, v68, v39
	v_sub_f32_e32 v66, v43, v68
	v_sub_f32_e32 v69, v62, v39
	v_add_f32_e32 v71, v63, v65
	v_add_f32_e32 v36, v36, v43
	v_fma_f32 v44, -0.5, v37, v40
	v_add_f32_e32 v37, v70, v63
	s_waitcnt vmcnt(1)
	v_mul_f32_e32 v70, v46, v23
	v_mul_f32_e32 v67, v55, v27
	v_add_f32_e32 v72, v38, v42
	v_fma_f32 v42, -0.5, v64, v40
	v_add_f32_e32 v64, v66, v69
	v_add_f32_e32 v36, v36, v62
	v_mul_f32_e32 v66, v35, v21
	v_mul_f32_e32 v73, v45, v23
	v_fma_f32 v70, v45, v22, -v70
	v_fma_f32 v45, -0.5, v71, v41
	v_fmac_f32_e32 v67, v56, v26
	v_mul_f32_e32 v69, v34, v21
	v_add_f32_e32 v36, v36, v39
	v_fma_f32 v66, v34, v20, -v66
	v_sub_f32_e32 v34, v68, v39
	v_mov_b32_e32 v39, v45
	v_fmac_f32_e32 v69, v35, v20
	v_fmac_f32_e32 v73, v46, v22
	;; [unrolled: 1-line block ×3, first 2 shown]
	v_sub_f32_e32 v35, v43, v62
	v_sub_f32_e32 v43, v51, v63
	;; [unrolled: 1-line block ×3, first 2 shown]
	v_fmac_f32_e32 v45, 0x3f737871, v34
	v_fmac_f32_e32 v39, 0xbf167918, v35
	v_add_f32_e32 v43, v43, v46
	v_fmac_f32_e32 v45, 0x3f167918, v35
	v_fmac_f32_e32 v39, 0x3e9e377a, v43
	;; [unrolled: 1-line block ×3, first 2 shown]
	v_add_f32_e32 v43, v51, v67
	v_fma_f32 v43, -0.5, v43, v41
	v_mov_b32_e32 v41, v43
	v_fmac_f32_e32 v41, 0x3f737871, v35
	v_fmac_f32_e32 v43, 0xbf737871, v35
	s_waitcnt vmcnt(0)
	v_mul_f32_e32 v74, v48, v13
	v_fmac_f32_e32 v41, 0xbf167918, v34
	v_fmac_f32_e32 v43, 0x3f167918, v34
	v_add_f32_e32 v34, v32, v66
	v_mul_f32_e32 v75, v47, v13
	v_mul_f32_e32 v76, v50, v15
	v_fma_f32 v74, v47, v12, -v74
	v_sub_f32_e32 v46, v63, v51
	v_sub_f32_e32 v47, v65, v67
	v_add_f32_e32 v34, v34, v70
	v_mul_f32_e32 v77, v49, v15
	v_fma_f32 v49, v49, v14, -v76
	v_add_f32_e32 v46, v46, v47
	v_add_f32_e32 v34, v34, v74
	v_fmac_f32_e32 v41, 0x3e9e377a, v46
	v_fmac_f32_e32 v43, 0x3e9e377a, v46
	v_add_f32_e32 v46, v34, v49
	v_add_f32_e32 v34, v70, v74
	v_fmac_f32_e32 v77, v50, v14
	v_fma_f32 v34, -0.5, v34, v32
	v_fmac_f32_e32 v75, v48, v12
	v_sub_f32_e32 v35, v69, v77
	v_mov_b32_e32 v48, v34
	v_sub_f32_e32 v55, v51, v67
	v_fmac_f32_e32 v48, 0x3f737871, v35
	v_sub_f32_e32 v47, v73, v75
	v_sub_f32_e32 v50, v66, v70
	;; [unrolled: 1-line block ×3, first 2 shown]
	v_fmac_f32_e32 v34, 0xbf737871, v35
	v_fmac_f32_e32 v48, 0x3f167918, v47
	v_add_f32_e32 v50, v50, v51
	v_fmac_f32_e32 v34, 0xbf167918, v47
	v_fmac_f32_e32 v48, 0x3e9e377a, v50
	;; [unrolled: 1-line block ×3, first 2 shown]
	v_add_f32_e32 v50, v66, v49
	v_fmac_f32_e32 v32, -0.5, v50
	v_mov_b32_e32 v50, v32
	v_fmac_f32_e32 v50, 0xbf737871, v47
	v_fmac_f32_e32 v32, 0x3f737871, v47
	;; [unrolled: 1-line block ×4, first 2 shown]
	v_add_f32_e32 v35, v33, v69
	v_add_f32_e32 v35, v35, v73
	v_sub_f32_e32 v56, v63, v65
	v_mov_b32_e32 v40, v42
	v_add_f32_e32 v35, v35, v75
	v_mov_b32_e32 v38, v44
	v_fmac_f32_e32 v42, 0x3f737871, v56
	v_fmac_f32_e32 v40, 0xbf737871, v56
	v_add_f32_e32 v47, v35, v77
	v_add_f32_e32 v35, v73, v75
	v_fmac_f32_e32 v44, 0xbf737871, v55
	v_fmac_f32_e32 v38, 0x3f737871, v55
	;; [unrolled: 1-line block ×4, first 2 shown]
	v_sub_f32_e32 v51, v70, v66
	v_sub_f32_e32 v55, v74, v49
	v_fma_f32 v35, -0.5, v35, v33
	v_add_f32_e32 v51, v51, v55
	v_sub_f32_e32 v55, v66, v49
	v_mov_b32_e32 v49, v35
	v_fmac_f32_e32 v44, 0xbf167918, v56
	v_fmac_f32_e32 v38, 0x3f167918, v56
	;; [unrolled: 1-line block ×5, first 2 shown]
	v_sub_f32_e32 v56, v70, v74
	v_sub_f32_e32 v51, v69, v73
	;; [unrolled: 1-line block ×3, first 2 shown]
	v_fmac_f32_e32 v35, 0x3f737871, v55
	v_fmac_f32_e32 v49, 0xbf167918, v56
	v_add_f32_e32 v51, v51, v62
	v_fmac_f32_e32 v35, 0x3f167918, v56
	v_fmac_f32_e32 v49, 0x3e9e377a, v51
	;; [unrolled: 1-line block ×3, first 2 shown]
	v_add_f32_e32 v51, v69, v77
	v_fmac_f32_e32 v33, -0.5, v51
	v_mov_b32_e32 v51, v33
	v_fmac_f32_e32 v51, 0x3f737871, v56
	v_sub_f32_e32 v62, v73, v69
	v_sub_f32_e32 v63, v75, v77
	v_fmac_f32_e32 v33, 0xbf737871, v56
	v_add_f32_e32 v37, v37, v65
	v_fmac_f32_e32 v51, 0xbf167918, v55
	v_add_f32_e32 v62, v62, v63
	;; [unrolled: 2-line block ×3, first 2 shown]
	v_fmac_f32_e32 v44, 0x3e9e377a, v72
	v_fmac_f32_e32 v42, 0x3e9e377a, v64
	;; [unrolled: 1-line block ×6, first 2 shown]
	ds_write2_b64 v57, v[36:37], v[38:39] offset1:99
	ds_write2_b64 v61, v[40:41], v[42:43] offset0:70 offset1:169
	ds_write_b64 v57, v[44:45] offset:3168
	s_and_saveexec_b64 s[2:3], s[0:1]
	s_cbranch_execz .LBB0_11
; %bb.10:
	v_add_u32_e32 v55, 0x400, v57
	ds_write2_b64 v57, v[46:47], v[48:49] offset0:55 offset1:154
	ds_write2_b64 v55, v[50:51], v[32:33] offset0:125 offset1:224
	ds_write_b64 v57, v[34:35] offset:3608
.LBB0_11:
	s_or_b64 exec, exec, s[2:3]
	s_waitcnt lgkmcnt(0)
	; wave barrier
	s_waitcnt lgkmcnt(0)
	s_and_saveexec_b64 s[2:3], vcc
	s_cbranch_execz .LBB0_13
; %bb.12:
	global_load_dwordx2 v[55:56], v57, s[8:9] offset:3960
	s_add_u32 s12, s8, 0xf78
	s_addc_u32 s13, s9, 0
	global_load_dwordx2 v[81:82], v57, s[12:13] offset:360
	global_load_dwordx2 v[83:84], v57, s[12:13] offset:720
	global_load_dwordx2 v[85:86], v57, s[12:13] offset:1080
	global_load_dwordx2 v[87:88], v57, s[12:13] offset:1440
	global_load_dwordx2 v[89:90], v57, s[12:13] offset:1800
	global_load_dwordx2 v[91:92], v57, s[12:13] offset:2160
	global_load_dwordx2 v[93:94], v57, s[12:13] offset:2520
	global_load_dwordx2 v[95:96], v57, s[12:13] offset:2880
	global_load_dwordx2 v[97:98], v57, s[12:13] offset:3240
	global_load_dwordx2 v[99:100], v57, s[12:13] offset:3600
	ds_read_b64 v[61:62], v57
	v_add_u32_e32 v101, 0x400, v57
	v_add_u32_e32 v102, 0x800, v57
	s_waitcnt vmcnt(10) lgkmcnt(0)
	v_mul_f32_e32 v63, v62, v56
	v_mul_f32_e32 v64, v61, v56
	v_fma_f32 v63, v61, v55, -v63
	v_fmac_f32_e32 v64, v62, v55
	ds_write_b64 v57, v[63:64]
	ds_read2_b64 v[61:64], v57 offset0:45 offset1:90
	ds_read2_b64 v[65:68], v57 offset0:135 offset1:180
	;; [unrolled: 1-line block ×5, first 2 shown]
	s_waitcnt vmcnt(9) lgkmcnt(4)
	v_mul_f32_e32 v55, v62, v82
	v_mul_f32_e32 v56, v61, v82
	s_waitcnt vmcnt(8)
	v_mul_f32_e32 v103, v64, v84
	v_mul_f32_e32 v82, v63, v84
	s_waitcnt vmcnt(7) lgkmcnt(3)
	v_mul_f32_e32 v104, v66, v86
	v_mul_f32_e32 v84, v65, v86
	s_waitcnt vmcnt(6)
	v_mul_f32_e32 v105, v68, v88
	v_mul_f32_e32 v86, v67, v88
	;; [unrolled: 6-line block ×5, first 2 shown]
	v_fma_f32 v55, v61, v81, -v55
	v_fmac_f32_e32 v56, v62, v81
	v_fma_f32 v81, v63, v83, -v103
	v_fmac_f32_e32 v82, v64, v83
	;; [unrolled: 2-line block ×10, first 2 shown]
	ds_write2_b64 v57, v[55:56], v[81:82] offset0:45 offset1:90
	ds_write2_b64 v57, v[83:84], v[85:86] offset0:135 offset1:180
	ds_write2_b64 v101, v[87:88], v[89:90] offset0:97 offset1:142
	ds_write2_b64 v102, v[91:92], v[93:94] offset0:59 offset1:104
	ds_write2_b64 v102, v[95:96], v[97:98] offset0:149 offset1:194
.LBB0_13:
	s_or_b64 exec, exec, s[2:3]
	s_waitcnt lgkmcnt(0)
	; wave barrier
	s_waitcnt lgkmcnt(0)
	s_and_saveexec_b64 s[2:3], vcc
	s_cbranch_execz .LBB0_15
; %bb.14:
	v_add_u32_e32 v32, 0x800, v57
	ds_read2_b64 v[36:39], v57 offset1:45
	ds_read2_b64 v[40:43], v57 offset0:90 offset1:135
	ds_read2_b64 v[44:47], v57 offset0:180 offset1:225
	;; [unrolled: 1-line block ×4, first 2 shown]
	ds_read_b64 v[53:54], v57 offset:3600
.LBB0_15:
	s_or_b64 exec, exec, s[2:3]
	s_waitcnt lgkmcnt(0)
	v_sub_f32_e32 v71, v39, v54
	v_add_f32_e32 v61, v53, v38
	v_add_f32_e32 v74, v54, v39
	s_mov_b32 s12, 0x3ed4b147
	v_mul_f32_e32 v77, 0xbf68dda4, v71
	v_sub_f32_e32 v72, v41, v35
	v_mul_f32_e32 v82, 0x3ed4b147, v74
	v_fma_f32 v55, v61, s12, -v77
	v_add_f32_e32 v62, v34, v40
	v_add_f32_e32 v76, v35, v41
	s_mov_b32 s13, 0xbf27a4f4
	v_mul_f32_e32 v80, 0xbf4178ce, v72
	v_sub_f32_e32 v63, v38, v53
	v_add_f32_e32 v55, v36, v55
	v_mov_b32_e32 v56, v82
	v_mul_f32_e32 v85, 0xbf27a4f4, v76
	v_fma_f32 v64, v62, s13, -v80
	v_fmac_f32_e32 v56, 0xbf68dda4, v63
	v_sub_f32_e32 v65, v40, v34
	v_add_f32_e32 v55, v64, v55
	v_mov_b32_e32 v64, v85
	v_add_f32_e32 v56, v37, v56
	v_fmac_f32_e32 v64, 0xbf4178ce, v65
	v_sub_f32_e32 v73, v43, v33
	v_add_f32_e32 v56, v64, v56
	v_add_f32_e32 v64, v32, v42
	;; [unrolled: 1-line block ×3, first 2 shown]
	v_mul_f32_e32 v84, 0x3e903f40, v73
	v_mul_f32_e32 v87, 0xbf75a155, v79
	v_fma_f32 v66, v64, s14, -v84
	v_sub_f32_e32 v67, v42, v32
	v_add_f32_e32 v55, v66, v55
	v_mov_b32_e32 v66, v87
	v_fmac_f32_e32 v66, 0x3e903f40, v67
	v_sub_f32_e32 v75, v45, v51
	v_add_f32_e32 v56, v66, v56
	v_add_f32_e32 v66, v50, v44
	;; [unrolled: 1-line block ×3, first 2 shown]
	s_mov_b32 s15, 0xbe11bafb
	v_mul_f32_e32 v86, 0x3f7d64f0, v75
	v_mul_f32_e32 v89, 0xbe11bafb, v81
	v_fma_f32 v68, v66, s15, -v86
	v_sub_f32_e32 v69, v44, v50
	v_add_f32_e32 v55, v68, v55
	v_mov_b32_e32 v68, v89
	v_fmac_f32_e32 v68, 0x3f7d64f0, v69
	v_sub_f32_e32 v78, v47, v49
	v_add_f32_e32 v56, v68, v56
	v_add_f32_e32 v68, v48, v46
	;; [unrolled: 1-line block ×3, first 2 shown]
	s_mov_b32 s16, 0x3f575c64
	v_mul_f32_e32 v88, 0x3f0a6770, v78
	v_mul_f32_e32 v90, 0x3f575c64, v83
	v_fma_f32 v91, v68, s16, -v88
	v_sub_f32_e32 v70, v46, v48
	v_add_f32_e32 v55, v91, v55
	v_mov_b32_e32 v91, v90
	v_fmac_f32_e32 v91, 0x3f0a6770, v70
	v_add_f32_e32 v56, v91, v56
	s_waitcnt lgkmcnt(0)
	; wave barrier
	s_and_saveexec_b64 s[2:3], vcc
	s_cbranch_execz .LBB0_17
; %bb.16:
	v_mul_f32_e32 v107, 0xbf75a155, v74
	v_mov_b32_e32 v91, v107
	v_mul_f32_e32 v108, 0x3f575c64, v76
	v_fmac_f32_e32 v91, 0x3e903f40, v63
	v_mov_b32_e32 v92, v108
	v_add_f32_e32 v91, v37, v91
	v_fmac_f32_e32 v92, 0xbf0a6770, v65
	v_mul_f32_e32 v109, 0xbf27a4f4, v79
	v_add_f32_e32 v91, v92, v91
	v_mov_b32_e32 v92, v109
	v_fmac_f32_e32 v92, 0x3f4178ce, v67
	v_mul_f32_e32 v110, 0x3ed4b147, v81
	v_add_f32_e32 v91, v92, v91
	v_mov_b32_e32 v92, v110
	;; [unrolled: 4-line block ×4, first 2 shown]
	v_mul_f32_e32 v113, 0x3f0a6770, v72
	v_fmac_f32_e32 v91, 0xbf75a155, v61
	v_mov_b32_e32 v93, v113
	v_add_f32_e32 v91, v36, v91
	v_fmac_f32_e32 v93, 0x3f575c64, v62
	v_mul_f32_e32 v114, 0xbf4178ce, v73
	v_add_f32_e32 v91, v93, v91
	v_mov_b32_e32 v93, v114
	v_fmac_f32_e32 v93, 0xbf27a4f4, v64
	v_mul_f32_e32 v115, 0x3f68dda4, v75
	v_add_f32_e32 v39, v39, v37
	v_add_f32_e32 v91, v93, v91
	v_mov_b32_e32 v93, v115
	v_add_f32_e32 v39, v41, v39
	v_fmac_f32_e32 v93, 0x3ed4b147, v66
	v_mul_f32_e32 v116, 0xbf7d64f0, v78
	v_add_f32_e32 v39, v43, v39
	v_add_f32_e32 v91, v93, v91
	v_mov_b32_e32 v93, v116
	v_add_f32_e32 v39, v45, v39
	v_fmac_f32_e32 v93, 0xbe11bafb, v68
	v_mul_f32_e32 v117, 0xbf27a4f4, v74
	v_add_f32_e32 v39, v47, v39
	v_add_f32_e32 v91, v93, v91
	v_mov_b32_e32 v93, v117
	v_mul_f32_e32 v118, 0xbe11bafb, v76
	v_add_f32_e32 v39, v49, v39
	v_fmac_f32_e32 v93, 0x3f4178ce, v63
	v_mov_b32_e32 v94, v118
	v_add_f32_e32 v39, v51, v39
	v_add_f32_e32 v93, v37, v93
	v_fmac_f32_e32 v94, 0xbf7d64f0, v65
	v_mul_f32_e32 v119, 0x3f575c64, v79
	v_add_f32_e32 v33, v33, v39
	v_add_f32_e32 v93, v94, v93
	v_mov_b32_e32 v94, v119
	v_add_f32_e32 v33, v35, v33
	v_add_f32_e32 v35, v38, v36
	v_fmac_f32_e32 v94, 0x3f0a6770, v67
	v_mul_f32_e32 v120, 0xbf75a155, v81
	v_add_f32_e32 v35, v40, v35
	v_add_f32_e32 v93, v94, v93
	v_mov_b32_e32 v94, v120
	v_add_f32_e32 v35, v42, v35
	v_fmac_f32_e32 v94, 0x3e903f40, v69
	v_mul_f32_e32 v121, 0x3ed4b147, v83
	v_add_f32_e32 v35, v44, v35
	v_add_f32_e32 v93, v94, v93
	v_mov_b32_e32 v94, v121
	;; [unrolled: 6-line block ×3, first 2 shown]
	v_mul_f32_e32 v123, 0x3f7d64f0, v72
	v_add_f32_e32 v35, v50, v35
	v_fmac_f32_e32 v93, 0xbf27a4f4, v61
	v_mov_b32_e32 v95, v123
	v_add_f32_e32 v32, v32, v35
	v_fmac_f32_e32 v107, 0xbe903f40, v63
	v_add_f32_e32 v93, v36, v93
	v_fmac_f32_e32 v95, 0xbe11bafb, v62
	v_mul_f32_e32 v124, 0xbf0a6770, v73
	v_add_f32_e32 v32, v34, v32
	v_add_f32_e32 v34, v37, v107
	v_fmac_f32_e32 v108, 0x3f0a6770, v65
	v_add_f32_e32 v93, v95, v93
	v_mov_b32_e32 v95, v124
	v_add_f32_e32 v34, v108, v34
	v_fmac_f32_e32 v109, 0xbf4178ce, v67
	v_fmac_f32_e32 v95, 0x3f575c64, v64
	v_mul_f32_e32 v125, 0xbe903f40, v75
	v_add_f32_e32 v34, v109, v34
	v_fmac_f32_e32 v110, 0x3f68dda4, v69
	v_add_f32_e32 v93, v95, v93
	v_mov_b32_e32 v95, v125
	v_add_f32_e32 v34, v110, v34
	v_fmac_f32_e32 v111, 0xbf7d64f0, v70
	v_mul_f32_e32 v97, 0x3ed4b147, v61
	v_fmac_f32_e32 v95, 0xbf75a155, v66
	v_mul_f32_e32 v126, 0x3f68dda4, v78
	v_add_f32_e32 v35, v111, v34
	v_fma_f32 v34, v61, s14, -v112
	v_mul_f32_e32 v99, 0xbf27a4f4, v62
	v_add_f32_e32 v93, v95, v93
	v_mov_b32_e32 v95, v126
	v_add_f32_e32 v77, v97, v77
	v_add_f32_e32 v34, v36, v34
	v_fma_f32 v38, v62, s16, -v113
	v_mul_f32_e32 v101, 0xbf75a155, v64
	v_fmac_f32_e32 v95, 0x3ed4b147, v68
	v_mul_f32_e32 v127, 0xbe11bafb, v74
	v_add_f32_e32 v77, v36, v77
	v_add_f32_e32 v80, v99, v80
	;; [unrolled: 1-line block ×3, first 2 shown]
	v_fma_f32 v38, v64, s13, -v114
	v_mul_f32_e32 v103, 0xbe11bafb, v66
	v_add_f32_e32 v93, v95, v93
	v_mov_b32_e32 v95, v127
	v_mul_f32_e32 v128, 0xbf75a155, v76
	v_add_f32_e32 v77, v80, v77
	v_add_f32_e32 v80, v101, v84
	;; [unrolled: 1-line block ×3, first 2 shown]
	v_fma_f32 v38, v66, s12, -v115
	v_mul_f32_e32 v105, 0x3f575c64, v68
	v_fmac_f32_e32 v95, 0x3f7d64f0, v63
	v_mov_b32_e32 v96, v128
	v_add_f32_e32 v77, v80, v77
	v_add_f32_e32 v80, v103, v86
	v_add_f32_e32 v34, v38, v34
	v_fma_f32 v38, v68, s15, -v116
	v_fmac_f32_e32 v117, 0xbf4178ce, v63
	v_add_f32_e32 v95, v37, v95
	v_fmac_f32_e32 v96, 0xbe903f40, v65
	v_mul_f32_e32 v129, 0x3ed4b147, v79
	v_add_f32_e32 v77, v80, v77
	v_add_f32_e32 v80, v105, v88
	;; [unrolled: 1-line block ×4, first 2 shown]
	v_fmac_f32_e32 v118, 0x3f7d64f0, v65
	v_add_f32_e32 v95, v96, v95
	v_mov_b32_e32 v96, v129
	v_add_f32_e32 v84, v80, v77
	v_mul_f32_e32 v77, 0x3f575c64, v74
	v_add_f32_e32 v38, v118, v38
	v_fmac_f32_e32 v119, 0xbf0a6770, v67
	v_fmac_f32_e32 v96, 0xbf68dda4, v67
	v_mul_f32_e32 v130, 0x3f575c64, v81
	v_mov_b32_e32 v74, v77
	v_mul_f32_e32 v76, 0x3ed4b147, v76
	v_add_f32_e32 v38, v119, v38
	v_fmac_f32_e32 v120, 0xbe903f40, v69
	v_add_f32_e32 v95, v96, v95
	v_mov_b32_e32 v96, v130
	v_fmac_f32_e32 v74, 0x3f0a6770, v63
	v_mov_b32_e32 v80, v76
	v_add_f32_e32 v38, v120, v38
	v_fmac_f32_e32 v121, 0x3f68dda4, v70
	v_fmac_f32_e32 v96, 0x3f0a6770, v69
	v_mul_f32_e32 v131, 0xbf27a4f4, v83
	v_add_f32_e32 v74, v37, v74
	v_fmac_f32_e32 v80, 0x3f68dda4, v65
	v_mul_f32_e32 v79, 0xbe11bafb, v79
	v_add_f32_e32 v39, v121, v38
	v_fma_f32 v38, v61, s13, -v122
	v_mul_f32_e32 v98, 0xbf68dda4, v63
	v_add_f32_e32 v95, v96, v95
	v_mov_b32_e32 v96, v131
	v_add_f32_e32 v74, v80, v74
	v_mov_b32_e32 v80, v79
	v_add_f32_e32 v38, v36, v38
	v_fma_f32 v40, v62, s15, -v123
	v_mul_f32_e32 v100, 0xbf4178ce, v65
	v_fmac_f32_e32 v96, 0x3f4178ce, v70
	v_mul_f32_e32 v132, 0xbf7d64f0, v71
	v_sub_f32_e32 v82, v82, v98
	v_fmac_f32_e32 v80, 0x3f7d64f0, v67
	v_add_f32_e32 v38, v40, v38
	v_fma_f32 v40, v64, s16, -v124
	v_mul_f32_e32 v102, 0x3e903f40, v67
	v_add_f32_e32 v96, v96, v95
	v_mov_b32_e32 v95, v132
	v_mul_f32_e32 v133, 0x3e903f40, v72
	v_add_f32_e32 v82, v37, v82
	v_sub_f32_e32 v85, v85, v100
	v_add_f32_e32 v74, v80, v74
	v_mul_f32_e32 v80, 0xbf27a4f4, v81
	v_add_f32_e32 v38, v40, v38
	v_fma_f32 v40, v66, s14, -v125
	v_mul_f32_e32 v104, 0x3f7d64f0, v69
	v_fmac_f32_e32 v95, 0xbe11bafb, v61
	v_mov_b32_e32 v134, v133
	v_add_f32_e32 v82, v85, v82
	v_sub_f32_e32 v85, v87, v102
	v_mov_b32_e32 v81, v80
	v_add_f32_e32 v38, v40, v38
	v_fma_f32 v40, v68, s12, -v126
	v_fmac_f32_e32 v127, 0xbf7d64f0, v63
	v_mul_f32_e32 v106, 0x3f0a6770, v70
	v_add_f32_e32 v95, v36, v95
	v_fmac_f32_e32 v134, 0xbf75a155, v62
	v_add_f32_e32 v82, v85, v82
	v_sub_f32_e32 v85, v89, v104
	v_fmac_f32_e32 v81, 0x3f4178ce, v69
	v_add_f32_e32 v38, v40, v38
	v_add_f32_e32 v40, v37, v127
	v_fmac_f32_e32 v128, 0x3e903f40, v65
	v_add_f32_e32 v95, v134, v95
	v_mul_f32_e32 v134, 0x3f68dda4, v73
	v_add_f32_e32 v82, v85, v82
	v_sub_f32_e32 v85, v90, v106
	v_add_f32_e32 v74, v81, v74
	v_mul_f32_e32 v81, 0xbf75a155, v83
	v_add_f32_e32 v40, v128, v40
	v_fmac_f32_e32 v129, 0x3f68dda4, v67
	v_mov_b32_e32 v135, v134
	v_add_f32_e32 v85, v85, v82
	v_mov_b32_e32 v82, v81
	v_add_f32_e32 v40, v129, v40
	v_fmac_f32_e32 v130, 0xbf0a6770, v69
	v_fmac_f32_e32 v135, 0x3ed4b147, v64
	;; [unrolled: 1-line block ×3, first 2 shown]
	v_mul_f32_e32 v71, 0xbf0a6770, v71
	v_add_f32_e32 v40, v130, v40
	v_fmac_f32_e32 v131, 0xbf4178ce, v70
	v_add_f32_e32 v95, v135, v95
	v_mul_f32_e32 v135, 0xbf0a6770, v75
	v_add_f32_e32 v74, v82, v74
	v_mov_b32_e32 v82, v71
	v_mul_f32_e32 v72, 0xbf68dda4, v72
	v_add_f32_e32 v41, v131, v40
	v_fma_f32 v40, v61, s15, -v132
	v_mov_b32_e32 v136, v135
	v_fmac_f32_e32 v82, 0x3f575c64, v61
	v_mov_b32_e32 v83, v72
	v_add_f32_e32 v40, v36, v40
	v_fma_f32 v42, v62, s14, -v133
	v_fmac_f32_e32 v136, 0x3f575c64, v66
	v_add_f32_e32 v82, v36, v82
	v_fmac_f32_e32 v83, 0x3ed4b147, v62
	v_add_f32_e32 v40, v42, v40
	v_fma_f32 v42, v64, s12, -v134
	v_add_f32_e32 v95, v136, v95
	v_mul_f32_e32 v136, 0xbf4178ce, v78
	v_add_f32_e32 v82, v83, v82
	v_mul_f32_e32 v83, 0xbf7d64f0, v73
	v_add_f32_e32 v40, v42, v40
	v_fma_f32 v42, v66, s16, -v135
	v_mov_b32_e32 v73, v83
	v_add_f32_e32 v40, v42, v40
	v_fma_f32 v42, v68, s13, -v136
	v_fmac_f32_e32 v73, 0xbe11bafb, v64
	v_mul_f32_e32 v75, 0xbf4178ce, v75
	v_add_f32_e32 v40, v42, v40
	v_fma_f32 v42, v61, s16, -v71
	v_add_f32_e32 v73, v73, v82
	v_mov_b32_e32 v82, v75
	v_fmac_f32_e32 v77, 0xbf0a6770, v63
	v_add_f32_e32 v36, v36, v42
	v_fma_f32 v42, v62, s12, -v72
	v_fmac_f32_e32 v82, 0xbf27a4f4, v66
	v_mul_f32_e32 v78, 0xbe903f40, v78
	v_add_f32_e32 v37, v37, v77
	v_fmac_f32_e32 v76, 0xbf68dda4, v65
	v_add_f32_e32 v36, v42, v36
	v_fma_f32 v42, v64, s15, -v83
	v_add_f32_e32 v73, v82, v73
	v_mov_b32_e32 v82, v78
	v_add_f32_e32 v37, v76, v37
	v_fmac_f32_e32 v79, 0xbf7d64f0, v67
	v_add_f32_e32 v36, v42, v36
	v_fma_f32 v42, v66, s13, -v75
	v_mov_b32_e32 v137, v136
	v_fmac_f32_e32 v82, 0xbf75a155, v68
	v_add_f32_e32 v37, v79, v37
	v_fmac_f32_e32 v80, 0xbf4178ce, v69
	v_add_f32_e32 v36, v42, v36
	v_fma_f32 v42, v68, s14, -v78
	v_fmac_f32_e32 v137, 0xbf27a4f4, v68
	v_add_f32_e32 v73, v82, v73
	v_add_f32_e32 v33, v54, v33
	;; [unrolled: 1-line block ×4, first 2 shown]
	v_fmac_f32_e32 v81, 0xbe903f40, v70
	v_add_f32_e32 v36, v42, v36
	v_lshlrev_b32_e32 v42, 3, v59
	v_add_f32_e32 v95, v137, v95
	v_add_f32_e32 v37, v81, v37
	ds_write2_b64 v42, v[32:33], v[73:74] offset1:1
	ds_write2_b64 v42, v[84:85], v[95:96] offset0:2 offset1:3
	ds_write2_b64 v42, v[93:94], v[91:92] offset0:4 offset1:5
	;; [unrolled: 1-line block ×4, first 2 shown]
	ds_write_b64 v42, v[36:37] offset:80
.LBB0_17:
	s_or_b64 exec, exec, s[2:3]
	s_waitcnt lgkmcnt(0)
	; wave barrier
	s_waitcnt lgkmcnt(0)
	ds_read2_b64 v[35:38], v57 offset1:55
	ds_read2_b64 v[39:42], v57 offset0:110 offset1:165
	v_add_u32_e32 v34, 0x400, v57
	ds_read2_b64 v[43:46], v34 offset0:92 offset1:147
	v_add_u32_e32 v32, 0x800, v57
	ds_read2_b64 v[47:50], v32 offset0:74 offset1:129
	ds_read_b64 v[32:33], v57 offset:3520
	s_waitcnt lgkmcnt(4)
	v_mul_f32_e32 v51, v17, v38
	v_mul_f32_e32 v17, v17, v37
	v_fmac_f32_e32 v51, v16, v37
	v_fma_f32 v16, v16, v38, -v17
	s_waitcnt lgkmcnt(3)
	v_mul_f32_e32 v17, v19, v40
	v_fmac_f32_e32 v17, v18, v39
	v_mul_f32_e32 v19, v19, v39
	s_waitcnt lgkmcnt(2)
	v_mul_f32_e32 v39, v5, v46
	v_mul_f32_e32 v5, v5, v45
	v_fma_f32 v18, v18, v40, -v19
	v_fmac_f32_e32 v39, v4, v45
	v_fma_f32 v40, v4, v46, -v5
	s_waitcnt lgkmcnt(1)
	v_mul_f32_e32 v4, v7, v48
	v_mul_f32_e32 v5, v7, v47
	v_fmac_f32_e32 v4, v6, v47
	v_fma_f32 v5, v6, v48, -v5
	v_mul_f32_e32 v6, v1, v50
	v_mul_f32_e32 v1, v1, v49
	;; [unrolled: 1-line block ×4, first 2 shown]
	v_fmac_f32_e32 v6, v0, v49
	v_fma_f32 v0, v0, v50, -v1
	s_waitcnt lgkmcnt(0)
	v_mul_f32_e32 v1, v3, v33
	v_mul_f32_e32 v3, v3, v32
	v_fmac_f32_e32 v19, v8, v41
	v_fma_f32 v8, v8, v42, -v9
	v_mul_f32_e32 v37, v11, v44
	v_mul_f32_e32 v9, v11, v43
	v_fmac_f32_e32 v1, v2, v32
	v_fma_f32 v2, v2, v33, -v3
	v_fmac_f32_e32 v37, v10, v43
	v_fma_f32 v38, v10, v44, -v9
	v_add_f32_e32 v32, v51, v1
	v_add_f32_e32 v33, v16, v2
	;; [unrolled: 1-line block ×5, first 2 shown]
	v_sub_f32_e32 v1, v51, v1
	v_sub_f32_e32 v0, v18, v0
	;; [unrolled: 1-line block ×4, first 2 shown]
	v_mov_b32_e32 v5, v36
	v_sub_f32_e32 v45, v16, v2
	v_sub_f32_e32 v46, v17, v6
	v_mul_f32_e32 v2, 0x3f248dbb, v1
	v_fmac_f32_e32 v5, 0x3f441b7d, v33
	v_fmac_f32_e32 v2, 0x3f7c1c5c, v46
	;; [unrolled: 1-line block ×4, first 2 shown]
	v_sub_f32_e32 v47, v37, v39
	v_mov_b32_e32 v4, v35
	v_fmac_f32_e32 v5, -0.5, v44
	v_add_f32_e32 v50, v38, v40
	v_add_f32_e32 v41, v17, v6
	v_mul_f32_e32 v3, 0x3f248dbb, v45
	v_fmac_f32_e32 v2, 0x3eaf1d44, v47
	v_fmac_f32_e32 v4, 0x3f441b7d, v32
	;; [unrolled: 1-line block ×5, first 2 shown]
	v_add_f32_e32 v9, v2, v5
	v_mov_b32_e32 v5, v36
	v_fmac_f32_e32 v3, 0x3f5db3d7, v19
	v_sub_f32_e32 v48, v38, v40
	v_fmac_f32_e32 v4, -0.5, v43
	v_add_f32_e32 v49, v37, v39
	v_fma_f32 v7, -2.0, v2, v9
	v_mul_f32_e32 v2, 0xbf248dbb, v47
	v_fmac_f32_e32 v5, 0x3f441b7d, v50
	v_fmac_f32_e32 v3, 0x3eaf1d44, v48
	;; [unrolled: 1-line block ×5, first 2 shown]
	v_sub_f32_e32 v8, v4, v3
	v_fmac_f32_e32 v2, 0xbf5db3d7, v18
	v_mov_b32_e32 v4, v35
	v_fmac_f32_e32 v5, -0.5, v44
	v_fma_f32 v6, 2.0, v3, v8
	v_mul_f32_e32 v3, 0xbf248dbb, v48
	v_fmac_f32_e32 v2, 0x3eaf1d44, v46
	v_fmac_f32_e32 v4, 0x3f441b7d, v49
	;; [unrolled: 1-line block ×5, first 2 shown]
	v_add_f32_e32 v11, v2, v5
	s_mov_b32 s2, 0xbf248dbb
	v_fmac_f32_e32 v3, 0xbf5db3d7, v19
	v_fmac_f32_e32 v4, -0.5, v43
	v_fma_f32 v5, -2.0, v2, v11
	v_add_f32_e32 v2, v47, v1
	v_mul_f32_e32 v47, 0x3f7c1c5c, v47
	v_fmac_f32_e32 v3, 0x3eaf1d44, v0
	v_fmac_f32_e32 v4, 0xbf708fb2, v41
	v_sub_f32_e32 v2, v2, v46
	v_fma_f32 v46, v46, s2, -v47
	v_sub_f32_e32 v10, v4, v3
	v_add_f32_e32 v54, v41, v32
	v_add_f32_e32 v59, v42, v33
	v_fmac_f32_e32 v46, 0x3f5db3d7, v18
	v_fma_f32 v4, 2.0, v3, v10
	v_add_f32_e32 v3, v48, v45
	v_mul_f32_e32 v48, 0x3f7c1c5c, v48
	v_fmac_f32_e32 v46, 0x3eaf1d44, v1
	v_add_f32_e32 v1, v43, v54
	v_add_f32_e32 v18, v44, v59
	v_sub_f32_e32 v3, v3, v0
	v_fma_f32 v0, v0, s2, -v48
	v_add_f32_e32 v1, v37, v1
	v_add_f32_e32 v18, v38, v18
	v_fmac_f32_e32 v0, 0x3f5db3d7, v19
	v_add_f32_e32 v1, v39, v1
	v_add_f32_e32 v19, v40, v18
	;; [unrolled: 1-line block ×6, first 2 shown]
	v_fmac_f32_e32 v35, 0x3f441b7d, v41
	v_fmac_f32_e32 v36, 0x3f441b7d, v42
	;; [unrolled: 1-line block ×4, first 2 shown]
	v_add_f32_e32 v61, v49, v54
	v_add_f32_e32 v62, v50, v59
	v_fmac_f32_e32 v35, -0.5, v43
	v_fmac_f32_e32 v36, -0.5, v44
	;; [unrolled: 1-line block ×4, first 2 shown]
	v_fmac_f32_e32 v0, 0x3eaf1d44, v45
	v_fmac_f32_e32 v35, 0xbf708fb2, v32
	;; [unrolled: 1-line block ×3, first 2 shown]
	v_mul_f32_e32 v51, 0x3f5db3d7, v2
	v_mul_f32_e32 v53, 0x3f5db3d7, v3
	v_fmac_f32_e32 v16, 0xbf5db3d7, v3
	v_fmac_f32_e32 v17, 0x3f5db3d7, v2
	v_sub_f32_e32 v32, v35, v0
	v_add_f32_e32 v33, v46, v36
	v_fma_f32 v2, 2.0, v53, v16
	v_fma_f32 v3, -2.0, v51, v17
	v_fma_f32 v0, 2.0, v0, v32
	v_fma_f32 v1, -2.0, v46, v33
	s_waitcnt lgkmcnt(0)
	; wave barrier
	ds_write2_b64 v60, v[18:19], v[8:9] offset1:11
	ds_write2_b64 v60, v[10:11], v[16:17] offset0:22 offset1:33
	ds_write2_b64 v60, v[32:33], v[0:1] offset0:44 offset1:55
	;; [unrolled: 1-line block ×3, first 2 shown]
	ds_write_b64 v60, v[6:7] offset:704
	s_waitcnt lgkmcnt(0)
	; wave barrier
	s_waitcnt lgkmcnt(0)
	ds_read2_b64 v[8:11], v57 offset1:99
	ds_read2_b64 v[16:19], v34 offset0:70 offset1:169
	ds_read_b64 v[32:33], v57 offset:3168
	s_and_saveexec_b64 s[2:3], s[0:1]
	s_cbranch_execz .LBB0_19
; %bb.18:
	ds_read2_b64 v[0:3], v57 offset0:55 offset1:154
	ds_read2_b64 v[4:7], v34 offset0:125 offset1:224
	ds_read_b64 v[55:56], v57 offset:3608
.LBB0_19:
	s_or_b64 exec, exec, s[2:3]
	s_waitcnt lgkmcnt(2)
	v_mul_f32_e32 v35, v29, v11
	v_fmac_f32_e32 v35, v28, v10
	v_mul_f32_e32 v10, v29, v10
	v_fma_f32 v28, v28, v11, -v10
	s_waitcnt lgkmcnt(1)
	v_mul_f32_e32 v29, v31, v17
	v_mul_f32_e32 v10, v31, v16
	v_mul_f32_e32 v31, v25, v19
	v_fmac_f32_e32 v29, v30, v16
	v_fma_f32 v30, v30, v17, -v10
	v_fmac_f32_e32 v31, v24, v18
	v_mul_f32_e32 v10, v25, v18
	v_fma_f32 v36, v24, v19, -v10
	s_waitcnt lgkmcnt(0)
	v_mul_f32_e32 v19, v27, v33
	v_mul_f32_e32 v10, v27, v32
	v_add_f32_e32 v11, v29, v31
	v_fmac_f32_e32 v19, v26, v32
	v_fma_f32 v26, v26, v33, -v10
	v_fma_f32 v16, -0.5, v11, v8
	v_sub_f32_e32 v11, v28, v26
	v_mov_b32_e32 v18, v16
	v_fmac_f32_e32 v18, 0xbf737871, v11
	v_sub_f32_e32 v17, v30, v36
	v_sub_f32_e32 v24, v35, v29
	v_sub_f32_e32 v25, v19, v31
	v_fmac_f32_e32 v16, 0x3f737871, v11
	v_fmac_f32_e32 v18, 0xbf167918, v17
	v_add_f32_e32 v24, v24, v25
	v_fmac_f32_e32 v16, 0x3f167918, v17
	v_fmac_f32_e32 v18, 0x3e9e377a, v24
	;; [unrolled: 1-line block ×3, first 2 shown]
	v_add_f32_e32 v24, v35, v19
	v_add_f32_e32 v10, v8, v35
	v_fma_f32 v8, -0.5, v24, v8
	v_mov_b32_e32 v24, v8
	v_add_f32_e32 v10, v10, v29
	v_fmac_f32_e32 v24, 0x3f737871, v17
	v_fmac_f32_e32 v8, 0xbf737871, v17
	v_add_f32_e32 v17, v30, v36
	v_add_f32_e32 v10, v10, v31
	v_sub_f32_e32 v25, v29, v35
	v_sub_f32_e32 v27, v31, v19
	v_fma_f32 v17, -0.5, v17, v9
	v_add_f32_e32 v10, v10, v19
	v_fmac_f32_e32 v24, 0xbf167918, v11
	v_add_f32_e32 v25, v25, v27
	v_fmac_f32_e32 v8, 0x3f167918, v11
	v_sub_f32_e32 v27, v35, v19
	v_mov_b32_e32 v19, v17
	v_fmac_f32_e32 v24, 0x3e9e377a, v25
	v_fmac_f32_e32 v8, 0x3e9e377a, v25
	;; [unrolled: 1-line block ×3, first 2 shown]
	v_sub_f32_e32 v29, v29, v31
	v_sub_f32_e32 v25, v28, v30
	;; [unrolled: 1-line block ×3, first 2 shown]
	v_fmac_f32_e32 v17, 0xbf737871, v27
	v_fmac_f32_e32 v19, 0x3f167918, v29
	v_add_f32_e32 v25, v25, v31
	v_fmac_f32_e32 v17, 0xbf167918, v29
	v_add_f32_e32 v11, v9, v28
	v_fmac_f32_e32 v19, 0x3e9e377a, v25
	v_fmac_f32_e32 v17, 0x3e9e377a, v25
	v_add_f32_e32 v25, v28, v26
	v_add_f32_e32 v11, v11, v30
	v_fma_f32 v9, -0.5, v25, v9
	v_add_f32_e32 v11, v11, v36
	v_mov_b32_e32 v25, v9
	v_add_f32_e32 v11, v11, v26
	v_fmac_f32_e32 v25, 0xbf737871, v29
	v_sub_f32_e32 v28, v30, v28
	v_sub_f32_e32 v26, v36, v26
	v_fmac_f32_e32 v9, 0x3f737871, v29
	v_fmac_f32_e32 v25, 0x3f167918, v27
	v_add_f32_e32 v26, v28, v26
	v_fmac_f32_e32 v9, 0xbf167918, v27
	v_fmac_f32_e32 v25, 0x3e9e377a, v26
	;; [unrolled: 1-line block ×3, first 2 shown]
	ds_write2_b64 v57, v[10:11], v[18:19] offset1:99
	ds_write2_b64 v34, v[24:25], v[8:9] offset0:70 offset1:169
	ds_write_b64 v57, v[16:17] offset:3168
	s_and_saveexec_b64 s[2:3], s[0:1]
	s_cbranch_execz .LBB0_21
; %bb.20:
	v_mul_f32_e32 v8, v15, v55
	v_fma_f32 v9, v14, v56, -v8
	v_mul_f32_e32 v8, v13, v6
	v_mul_f32_e32 v18, v21, v3
	v_fma_f32 v11, v12, v7, -v8
	v_mul_f32_e32 v8, v23, v4
	v_fmac_f32_e32 v18, v20, v2
	v_mul_f32_e32 v19, v23, v5
	v_fma_f32 v16, v22, v5, -v8
	v_mul_f32_e32 v8, v21, v2
	v_add_f32_e32 v2, v18, v0
	v_fmac_f32_e32 v19, v22, v4
	v_mul_f32_e32 v13, v13, v7
	v_add_f32_e32 v2, v19, v2
	v_fmac_f32_e32 v13, v12, v6
	v_mul_f32_e32 v6, v15, v56
	v_fma_f32 v17, v20, v3, -v8
	v_add_f32_e32 v2, v13, v2
	v_fmac_f32_e32 v6, v14, v55
	v_add_f32_e32 v7, v6, v2
	v_sub_f32_e32 v2, v16, v17
	v_sub_f32_e32 v3, v11, v9
	v_add_f32_e32 v2, v2, v3
	v_add_f32_e32 v3, v17, v9
	v_fma_f32 v3, -0.5, v3, v1
	v_sub_f32_e32 v4, v19, v13
	v_mov_b32_e32 v5, v3
	v_fmac_f32_e32 v5, 0x3f737871, v4
	v_sub_f32_e32 v12, v18, v6
	v_fmac_f32_e32 v3, 0xbf737871, v4
	v_fmac_f32_e32 v5, 0xbf167918, v12
	;; [unrolled: 1-line block ×5, first 2 shown]
	v_sub_f32_e32 v2, v17, v16
	v_sub_f32_e32 v10, v9, v11
	v_add_f32_e32 v2, v2, v10
	v_add_f32_e32 v10, v16, v11
	;; [unrolled: 1-line block ×3, first 2 shown]
	v_fmac_f32_e32 v1, -0.5, v10
	v_mov_b32_e32 v10, v1
	v_fmac_f32_e32 v10, 0xbf737871, v12
	v_fmac_f32_e32 v1, 0x3f737871, v12
	v_add_f32_e32 v8, v16, v8
	v_fmac_f32_e32 v10, 0xbf167918, v4
	v_fmac_f32_e32 v1, 0x3f167918, v4
	v_add_f32_e32 v8, v11, v8
	v_fmac_f32_e32 v10, 0x3e9e377a, v2
	v_fmac_f32_e32 v1, 0x3e9e377a, v2
	v_sub_f32_e32 v2, v19, v18
	v_sub_f32_e32 v4, v13, v6
	v_add_f32_e32 v8, v9, v8
	v_add_f32_e32 v12, v2, v4
	v_sub_f32_e32 v14, v17, v9
	v_add_f32_e32 v2, v18, v6
	v_sub_f32_e32 v9, v18, v19
	v_sub_f32_e32 v6, v6, v13
	v_add_f32_e32 v6, v9, v6
	v_add_f32_e32 v9, v19, v13
	v_fma_f32 v2, -0.5, v2, v0
	v_fmac_f32_e32 v0, -0.5, v9
	v_sub_f32_e32 v11, v16, v11
	v_mov_b32_e32 v4, v2
	v_mov_b32_e32 v9, v0
	v_fmac_f32_e32 v0, 0xbf737871, v14
	v_fmac_f32_e32 v4, 0xbf737871, v11
	;; [unrolled: 1-line block ×11, first 2 shown]
	ds_write2_b64 v57, v[7:8], v[0:1] offset0:55 offset1:154
	v_add_u32_e32 v0, 0x400, v57
	v_fmac_f32_e32 v9, 0x3e9e377a, v6
	ds_write2_b64 v0, v[2:3], v[4:5] offset0:125 offset1:224
	ds_write_b64 v57, v[9:10] offset:3608
.LBB0_21:
	s_or_b64 exec, exec, s[2:3]
	s_waitcnt lgkmcnt(0)
	; wave barrier
	s_waitcnt lgkmcnt(0)
	s_and_b64 exec, exec, vcc
	s_cbranch_execz .LBB0_23
; %bb.22:
	global_load_dwordx2 v[8:9], v57, s[8:9]
	global_load_dwordx2 v[10:11], v57, s[8:9] offset:360
	global_load_dwordx2 v[12:13], v57, s[8:9] offset:720
	;; [unrolled: 1-line block ×4, first 2 shown]
	ds_read_b64 v[18:19], v57
	ds_read2_b64 v[0:3], v57 offset0:45 offset1:90
	ds_read2_b64 v[4:7], v57 offset0:135 offset1:180
	global_load_dwordx2 v[24:25], v57, s[8:9] offset:1800
	global_load_dwordx2 v[26:27], v57, s[8:9] offset:2160
	v_mad_u64_u32 v[20:21], s[0:1], s6, v52, 0
	v_mad_u64_u32 v[22:23], s[2:3], s4, v58, 0
	s_mul_i32 s3, s5, 0x168
	s_mul_hi_u32 s6, s4, 0x168
	s_add_i32 s3, s6, s3
	v_mad_u64_u32 v[28:29], s[6:7], s7, v52, v[21:22]
	s_mul_i32 s2, s4, 0x168
	v_mov_b32_e32 v31, s11
	v_mov_b32_e32 v21, v28
	v_lshlrev_b64 v[20:21], 3, v[20:21]
	v_mov_b32_e32 v32, s3
	v_add_co_u32_e32 v20, vcc, s10, v20
	v_addc_co_u32_e32 v21, vcc, v31, v21, vcc
	s_mov_b32 s0, 0xb37565e2
	s_mov_b32 s1, 0x3f608cab
	s_waitcnt vmcnt(5) lgkmcnt(1)
	v_mul_f32_e32 v31, v1, v11
	v_mul_f32_e32 v11, v0, v11
	s_waitcnt vmcnt(3) lgkmcnt(0)
	v_mul_f32_e32 v33, v5, v15
	v_mul_f32_e32 v15, v4, v15
	s_waitcnt vmcnt(2)
	v_mul_f32_e32 v34, v7, v17
	v_mul_f32_e32 v17, v6, v17
	s_waitcnt vmcnt(1)
	v_mad_u64_u32 v[29:30], s[4:5], s5, v58, v[23:24]
	v_mov_b32_e32 v30, s3
	v_fmac_f32_e32 v31, v0, v10
	v_mov_b32_e32 v23, v29
	v_lshlrev_b64 v[22:23], 3, v[22:23]
	v_fma_f32 v10, v10, v1, -v11
	v_add_co_u32_e32 v20, vcc, v20, v22
	v_addc_co_u32_e32 v21, vcc, v21, v23, vcc
	v_add_co_u32_e32 v22, vcc, s2, v20
	v_addc_co_u32_e32 v23, vcc, v21, v30, vcc
	v_mul_f32_e32 v30, v19, v9
	v_mul_f32_e32 v9, v18, v9
	v_fmac_f32_e32 v30, v18, v8
	v_fma_f32 v18, v8, v19, -v9
	global_load_dwordx2 v[8:9], v57, s[8:9] offset:2520
	v_add_co_u32_e32 v28, vcc, s2, v22
	v_addc_co_u32_e32 v29, vcc, v23, v32, vcc
	v_mul_f32_e32 v32, v3, v13
	v_mul_f32_e32 v13, v2, v13
	v_fmac_f32_e32 v32, v2, v12
	v_fma_f32 v12, v12, v3, -v13
	v_cvt_f64_f32_e32 v[0:1], v30
	v_cvt_f64_f32_e32 v[2:3], v18
	v_fmac_f32_e32 v33, v4, v14
	v_fma_f32 v19, v14, v5, -v15
	v_fmac_f32_e32 v34, v6, v16
	v_fma_f32 v35, v16, v7, -v17
	v_cvt_f64_f32_e32 v[4:5], v31
	global_load_dwordx2 v[30:31], v57, s[8:9] offset:2880
	v_cvt_f64_f32_e32 v[6:7], v10
	v_cvt_f64_f32_e32 v[10:11], v32
	;; [unrolled: 1-line block ×3, first 2 shown]
	v_mul_f64 v[0:1], v[0:1], s[0:1]
	v_mul_f64 v[2:3], v[2:3], s[0:1]
	;; [unrolled: 1-line block ×6, first 2 shown]
	v_cvt_f64_f32_e32 v[16:17], v19
	v_cvt_f64_f32_e32 v[14:15], v33
	v_cvt_f32_f64_e32 v0, v[0:1]
	v_cvt_f32_f64_e32 v1, v[2:3]
	v_cvt_f32_f64_e32 v2, v[4:5]
	v_cvt_f32_f64_e32 v3, v[6:7]
	v_cvt_f32_f64_e32 v4, v[10:11]
	v_cvt_f32_f64_e32 v5, v[12:13]
	global_store_dwordx2 v[20:21], v[0:1], off
	global_store_dwordx2 v[22:23], v[2:3], off
	;; [unrolled: 1-line block ×3, first 2 shown]
	v_mul_f64 v[16:17], v[16:17], s[0:1]
	global_load_dwordx2 v[10:11], v57, s[8:9] offset:3240
	v_cvt_f64_f32_e32 v[18:19], v34
	v_cvt_f64_f32_e32 v[0:1], v35
	v_mul_f64 v[14:15], v[14:15], s[0:1]
	v_mul_f64 v[4:5], v[18:19], s[0:1]
	;; [unrolled: 1-line block ×3, first 2 shown]
	v_cvt_f32_f64_e32 v7, v[16:17]
	global_load_dwordx2 v[16:17], v57, s[8:9] offset:3600
	v_add_u32_e32 v0, 0x400, v57
	ds_read2_b64 v[0:3], v0 offset0:97 offset1:142
	v_cvt_f32_f64_e32 v6, v[14:15]
	v_mov_b32_e32 v15, s3
	v_cvt_f32_f64_e32 v4, v[4:5]
	v_add_co_u32_e32 v14, vcc, s2, v28
	s_waitcnt lgkmcnt(0)
	v_mul_f32_e32 v5, v1, v25
	v_fmac_f32_e32 v5, v0, v24
	v_mul_f32_e32 v0, v0, v25
	v_addc_co_u32_e32 v15, vcc, v29, v15, vcc
	v_fma_f32 v0, v24, v1, -v0
	global_store_dwordx2 v[14:15], v[6:7], off
	v_cvt_f64_f32_e32 v[6:7], v5
	v_cvt_f64_f32_e32 v[0:1], v0
	v_cvt_f32_f64_e32 v5, v[12:13]
	v_mov_b32_e32 v13, s3
	v_add_co_u32_e32 v12, vcc, s2, v14
	v_mul_f64 v[6:7], v[6:7], s[0:1]
	v_addc_co_u32_e32 v13, vcc, v15, v13, vcc
	v_mul_f64 v[0:1], v[0:1], s[0:1]
	global_store_dwordx2 v[12:13], v[4:5], off
	s_waitcnt vmcnt(9)
	v_mul_f32_e32 v5, v3, v27
	v_fmac_f32_e32 v5, v2, v26
	v_mul_f32_e32 v2, v2, v27
	v_fma_f32 v2, v26, v3, -v2
	v_cvt_f64_f32_e32 v[2:3], v2
	v_add_u32_e32 v19, 0x800, v57
	v_cvt_f32_f64_e32 v4, v[6:7]
	v_cvt_f64_f32_e32 v[6:7], v5
	v_cvt_f32_f64_e32 v5, v[0:1]
	v_mul_f64 v[14:15], v[2:3], s[0:1]
	ds_read2_b64 v[0:3], v19 offset0:59 offset1:104
	v_mov_b32_e32 v18, s3
	v_add_co_u32_e32 v12, vcc, s2, v12
	v_addc_co_u32_e32 v13, vcc, v13, v18, vcc
	global_store_dwordx2 v[12:13], v[4:5], off
	s_waitcnt vmcnt(9) lgkmcnt(0)
	v_mul_f32_e32 v4, v1, v9
	v_fmac_f32_e32 v4, v0, v8
	v_cvt_f64_f32_e32 v[4:5], v4
	v_mul_f64 v[6:7], v[6:7], s[0:1]
	v_mul_f32_e32 v0, v0, v9
	v_fma_f32 v0, v8, v1, -v0
	v_mul_f64 v[4:5], v[4:5], s[0:1]
	v_cvt_f64_f32_e32 v[0:1], v0
	v_add_co_u32_e32 v8, vcc, s2, v12
	v_cvt_f32_f64_e32 v6, v[6:7]
	v_cvt_f32_f64_e32 v7, v[14:15]
	v_mov_b32_e32 v14, s3
	v_mul_f64 v[0:1], v[0:1], s[0:1]
	v_cvt_f32_f64_e32 v4, v[4:5]
	s_waitcnt vmcnt(8)
	v_mul_f32_e32 v5, v3, v31
	v_addc_co_u32_e32 v9, vcc, v13, v14, vcc
	v_fmac_f32_e32 v5, v2, v30
	global_store_dwordx2 v[8:9], v[6:7], off
	v_cvt_f64_f32_e32 v[6:7], v5
	v_mul_f32_e32 v2, v2, v31
	v_fma_f32 v2, v30, v3, -v2
	v_cvt_f64_f32_e32 v[2:3], v2
	v_mul_f64 v[6:7], v[6:7], s[0:1]
	v_cvt_f32_f64_e32 v5, v[0:1]
	v_mov_b32_e32 v0, s3
	v_add_co_u32_e32 v8, vcc, s2, v8
	v_mul_f64 v[12:13], v[2:3], s[0:1]
	v_addc_co_u32_e32 v9, vcc, v9, v0, vcc
	ds_read2_b64 v[0:3], v19 offset0:149 offset1:194
	global_store_dwordx2 v[8:9], v[4:5], off
	v_cvt_f32_f64_e32 v4, v[6:7]
	v_add_co_u32_e32 v8, vcc, s2, v8
	s_waitcnt vmcnt(6) lgkmcnt(0)
	v_mul_f32_e32 v6, v1, v11
	v_fmac_f32_e32 v6, v0, v10
	v_mul_f32_e32 v0, v0, v11
	v_fma_f32 v0, v10, v1, -v0
	v_cvt_f32_f64_e32 v5, v[12:13]
	v_cvt_f64_f32_e32 v[6:7], v6
	v_cvt_f64_f32_e32 v[0:1], v0
	v_mov_b32_e32 v12, s3
	v_addc_co_u32_e32 v9, vcc, v9, v12, vcc
	global_store_dwordx2 v[8:9], v[4:5], off
	v_mul_f64 v[4:5], v[6:7], s[0:1]
	v_mul_f64 v[0:1], v[0:1], s[0:1]
	s_waitcnt vmcnt(6)
	v_mul_f32_e32 v6, v3, v17
	v_fmac_f32_e32 v6, v2, v16
	v_mul_f32_e32 v2, v2, v17
	v_fma_f32 v2, v16, v3, -v2
	v_cvt_f64_f32_e32 v[6:7], v6
	v_cvt_f64_f32_e32 v[2:3], v2
	v_cvt_f32_f64_e32 v4, v[4:5]
	v_cvt_f32_f64_e32 v5, v[0:1]
	v_mul_f64 v[0:1], v[6:7], s[0:1]
	v_mul_f64 v[2:3], v[2:3], s[0:1]
	v_mov_b32_e32 v7, s3
	v_add_co_u32_e32 v6, vcc, s2, v8
	v_addc_co_u32_e32 v7, vcc, v9, v7, vcc
	global_store_dwordx2 v[6:7], v[4:5], off
	v_cvt_f32_f64_e32 v0, v[0:1]
	v_cvt_f32_f64_e32 v1, v[2:3]
	v_mov_b32_e32 v3, s3
	v_add_co_u32_e32 v2, vcc, s2, v6
	v_addc_co_u32_e32 v3, vcc, v7, v3, vcc
	global_store_dwordx2 v[2:3], v[0:1], off
.LBB0_23:
	s_endpgm
	.section	.rodata,"a",@progbits
	.p2align	6, 0x0
	.amdhsa_kernel bluestein_single_fwd_len495_dim1_sp_op_CI_CI
		.amdhsa_group_segment_fixed_size 3960
		.amdhsa_private_segment_fixed_size 0
		.amdhsa_kernarg_size 104
		.amdhsa_user_sgpr_count 6
		.amdhsa_user_sgpr_private_segment_buffer 1
		.amdhsa_user_sgpr_dispatch_ptr 0
		.amdhsa_user_sgpr_queue_ptr 0
		.amdhsa_user_sgpr_kernarg_segment_ptr 1
		.amdhsa_user_sgpr_dispatch_id 0
		.amdhsa_user_sgpr_flat_scratch_init 0
		.amdhsa_user_sgpr_private_segment_size 0
		.amdhsa_uses_dynamic_stack 0
		.amdhsa_system_sgpr_private_segment_wavefront_offset 0
		.amdhsa_system_sgpr_workgroup_id_x 1
		.amdhsa_system_sgpr_workgroup_id_y 0
		.amdhsa_system_sgpr_workgroup_id_z 0
		.amdhsa_system_sgpr_workgroup_info 0
		.amdhsa_system_vgpr_workitem_id 0
		.amdhsa_next_free_vgpr 138
		.amdhsa_next_free_sgpr 17
		.amdhsa_reserve_vcc 1
		.amdhsa_reserve_flat_scratch 0
		.amdhsa_float_round_mode_32 0
		.amdhsa_float_round_mode_16_64 0
		.amdhsa_float_denorm_mode_32 3
		.amdhsa_float_denorm_mode_16_64 3
		.amdhsa_dx10_clamp 1
		.amdhsa_ieee_mode 1
		.amdhsa_fp16_overflow 0
		.amdhsa_exception_fp_ieee_invalid_op 0
		.amdhsa_exception_fp_denorm_src 0
		.amdhsa_exception_fp_ieee_div_zero 0
		.amdhsa_exception_fp_ieee_overflow 0
		.amdhsa_exception_fp_ieee_underflow 0
		.amdhsa_exception_fp_ieee_inexact 0
		.amdhsa_exception_int_div_zero 0
	.end_amdhsa_kernel
	.text
.Lfunc_end0:
	.size	bluestein_single_fwd_len495_dim1_sp_op_CI_CI, .Lfunc_end0-bluestein_single_fwd_len495_dim1_sp_op_CI_CI
                                        ; -- End function
	.section	.AMDGPU.csdata,"",@progbits
; Kernel info:
; codeLenInByte = 10992
; NumSgprs: 21
; NumVgprs: 138
; ScratchSize: 0
; MemoryBound: 0
; FloatMode: 240
; IeeeMode: 1
; LDSByteSize: 3960 bytes/workgroup (compile time only)
; SGPRBlocks: 2
; VGPRBlocks: 34
; NumSGPRsForWavesPerEU: 21
; NumVGPRsForWavesPerEU: 138
; Occupancy: 1
; WaveLimiterHint : 1
; COMPUTE_PGM_RSRC2:SCRATCH_EN: 0
; COMPUTE_PGM_RSRC2:USER_SGPR: 6
; COMPUTE_PGM_RSRC2:TRAP_HANDLER: 0
; COMPUTE_PGM_RSRC2:TGID_X_EN: 1
; COMPUTE_PGM_RSRC2:TGID_Y_EN: 0
; COMPUTE_PGM_RSRC2:TGID_Z_EN: 0
; COMPUTE_PGM_RSRC2:TIDIG_COMP_CNT: 0
	.type	__hip_cuid_a13836bd61fb5b93,@object ; @__hip_cuid_a13836bd61fb5b93
	.section	.bss,"aw",@nobits
	.globl	__hip_cuid_a13836bd61fb5b93
__hip_cuid_a13836bd61fb5b93:
	.byte	0                               ; 0x0
	.size	__hip_cuid_a13836bd61fb5b93, 1

	.ident	"AMD clang version 19.0.0git (https://github.com/RadeonOpenCompute/llvm-project roc-6.4.0 25133 c7fe45cf4b819c5991fe208aaa96edf142730f1d)"
	.section	".note.GNU-stack","",@progbits
	.addrsig
	.addrsig_sym __hip_cuid_a13836bd61fb5b93
	.amdgpu_metadata
---
amdhsa.kernels:
  - .args:
      - .actual_access:  read_only
        .address_space:  global
        .offset:         0
        .size:           8
        .value_kind:     global_buffer
      - .actual_access:  read_only
        .address_space:  global
        .offset:         8
        .size:           8
        .value_kind:     global_buffer
      - .actual_access:  read_only
        .address_space:  global
        .offset:         16
        .size:           8
        .value_kind:     global_buffer
      - .actual_access:  read_only
        .address_space:  global
        .offset:         24
        .size:           8
        .value_kind:     global_buffer
      - .actual_access:  read_only
        .address_space:  global
        .offset:         32
        .size:           8
        .value_kind:     global_buffer
      - .offset:         40
        .size:           8
        .value_kind:     by_value
      - .address_space:  global
        .offset:         48
        .size:           8
        .value_kind:     global_buffer
      - .address_space:  global
        .offset:         56
        .size:           8
        .value_kind:     global_buffer
      - .address_space:  global
        .offset:         64
        .size:           8
        .value_kind:     global_buffer
      - .address_space:  global
        .offset:         72
        .size:           8
        .value_kind:     global_buffer
      - .offset:         80
        .size:           4
        .value_kind:     by_value
      - .address_space:  global
        .offset:         88
        .size:           8
        .value_kind:     global_buffer
      - .address_space:  global
        .offset:         96
        .size:           8
        .value_kind:     global_buffer
    .group_segment_fixed_size: 3960
    .kernarg_segment_align: 8
    .kernarg_segment_size: 104
    .language:       OpenCL C
    .language_version:
      - 2
      - 0
    .max_flat_workgroup_size: 55
    .name:           bluestein_single_fwd_len495_dim1_sp_op_CI_CI
    .private_segment_fixed_size: 0
    .sgpr_count:     21
    .sgpr_spill_count: 0
    .symbol:         bluestein_single_fwd_len495_dim1_sp_op_CI_CI.kd
    .uniform_work_group_size: 1
    .uses_dynamic_stack: false
    .vgpr_count:     138
    .vgpr_spill_count: 0
    .wavefront_size: 64
amdhsa.target:   amdgcn-amd-amdhsa--gfx906
amdhsa.version:
  - 1
  - 2
...

	.end_amdgpu_metadata
